;; amdgpu-corpus repo=ROCm/rocFFT kind=compiled arch=gfx1030 opt=O3
	.text
	.amdgcn_target "amdgcn-amd-amdhsa--gfx1030"
	.amdhsa_code_object_version 6
	.protected	bluestein_single_fwd_len88_dim1_half_op_CI_CI ; -- Begin function bluestein_single_fwd_len88_dim1_half_op_CI_CI
	.globl	bluestein_single_fwd_len88_dim1_half_op_CI_CI
	.p2align	8
	.type	bluestein_single_fwd_len88_dim1_half_op_CI_CI,@function
bluestein_single_fwd_len88_dim1_half_op_CI_CI: ; @bluestein_single_fwd_len88_dim1_half_op_CI_CI
; %bb.0:
	s_load_dwordx4 s[0:3], s[4:5], 0x28
	v_mul_u32_u24_e32 v1, 0x1746, v0
	v_lshrrev_b32_e32 v1, 16, v1
	v_mad_u64_u32 v[7:8], null, s6, 11, v[1:2]
	v_mov_b32_e32 v8, 0
	s_waitcnt lgkmcnt(0)
	v_cmp_gt_u64_e32 vcc_lo, s[0:1], v[7:8]
	s_and_saveexec_b32 s0, vcc_lo
	s_cbranch_execz .LBB0_15
; %bb.1:
	v_mul_hi_u32 v2, 0xba2e8ba3, v7
	v_mul_lo_u16 v1, v1, 11
	s_clause 0x1
	s_load_dwordx2 s[24:25], s[4:5], 0x0
	s_load_dwordx2 s[6:7], s[4:5], 0x38
	v_sub_nc_u16 v0, v0, v1
	v_lshrrev_b32_e32 v2, 3, v2
	v_and_b32_e32 v26, 0xffff, v0
	v_cmp_gt_u16_e32 vcc_lo, 8, v0
	v_mul_lo_u32 v2, v2, 11
	v_lshlrev_b32_e32 v24, 2, v26
	v_or_b32_e32 v27, 8, v26
	v_or_b32_e32 v28, 16, v26
	;; [unrolled: 1-line block ×4, first 2 shown]
	v_sub_nc_u32_e32 v1, v7, v2
	v_or_b32_e32 v23, 40, v26
	v_or_b32_e32 v22, 48, v26
	;; [unrolled: 1-line block ×4, first 2 shown]
	v_mul_u32_u24_e32 v10, 0x58, v1
	v_or_b32_e32 v19, 0x48, v26
	v_or_b32_e32 v18, 0x50, v26
	;; [unrolled: 1-line block ×3, first 2 shown]
	v_lshlrev_b32_e32 v31, 2, v0
	s_and_saveexec_b32 s1, vcc_lo
	s_cbranch_execz .LBB0_3
; %bb.2:
	s_load_dwordx2 s[8:9], s[4:5], 0x18
	s_waitcnt lgkmcnt(0)
	s_load_dwordx4 s[8:11], s[8:9], 0x0
	s_waitcnt lgkmcnt(0)
	v_mad_u64_u32 v[0:1], null, s10, v7, 0
	v_mad_u64_u32 v[2:3], null, s8, v26, 0
	;; [unrolled: 1-line block ×6, first 2 shown]
	v_mov_b32_e32 v17, v35
	v_mad_u64_u32 v[35:36], null, s11, v7, v[1:2]
	v_mad_u64_u32 v[13:14], null, s8, v25, 0
	v_mov_b32_e32 v6, v9
	v_mad_u64_u32 v[36:37], null, s9, v26, v[3:4]
	v_mad_u64_u32 v[15:16], null, s8, v23, 0
	v_mad_u64_u32 v[32:33], null, s8, v22, 0
	v_mad_u64_u32 v[37:38], null, s9, v27, v[5:6]
	v_mov_b32_e32 v1, v35
	v_mov_b32_e32 v9, v12
	;; [unrolled: 1-line block ×3, first 2 shown]
	v_mad_u64_u32 v[38:39], null, s9, v28, v[6:7]
	v_mov_b32_e32 v3, v36
	v_lshlrev_b64 v[0:1], 2, v[0:1]
	v_mov_b32_e32 v14, v16
	v_mad_u64_u32 v[39:40], null, s9, v29, v[9:10]
	v_mov_b32_e32 v16, v33
	v_mad_u64_u32 v[40:41], null, s9, v25, v[12:13]
	v_mov_b32_e32 v5, v37
	v_lshlrev_b64 v[2:3], 2, v[2:3]
	v_mad_u64_u32 v[41:42], null, s9, v23, v[14:15]
	v_mov_b32_e32 v9, v38
	v_add_co_u32 v30, s0, s2, v0
	v_mad_u64_u32 v[42:43], null, s9, v22, v[16:17]
	v_lshlrev_b64 v[4:5], 2, v[4:5]
	v_add_co_ci_u32_e64 v43, s0, s3, v1, s0
	v_mov_b32_e32 v12, v39
	v_mov_b32_e32 v14, v40
	v_lshlrev_b64 v[8:9], 2, v[8:9]
	v_add_co_u32 v2, s0, v30, v2
	v_add_co_ci_u32_e64 v3, s0, v43, v3, s0
	v_lshlrev_b64 v[11:12], 2, v[11:12]
	v_add_co_u32 v4, s0, v30, v4
	v_mov_b32_e32 v16, v41
	v_lshlrev_b64 v[0:1], 2, v[13:14]
	v_mad_u64_u32 v[13:14], null, s9, v21, v[17:18]
	v_mad_u64_u32 v[36:37], null, s8, v20, 0
	v_add_co_ci_u32_e64 v5, s0, v43, v5, s0
	v_add_co_u32 v8, s0, v30, v8
	v_add_co_ci_u32_e64 v9, s0, v43, v9, s0
	v_add_co_u32 v11, s0, v30, v11
	v_lshlrev_b64 v[14:15], 2, v[15:16]
	v_add_co_ci_u32_e64 v12, s0, v43, v12, s0
	v_add_co_u32 v0, s0, v30, v0
	v_mov_b32_e32 v33, v42
	v_mov_b32_e32 v35, v13
	;; [unrolled: 1-line block ×3, first 2 shown]
	v_add_co_ci_u32_e64 v1, s0, v43, v1, s0
	v_add_co_u32 v13, s0, v30, v14
	v_add_co_ci_u32_e64 v14, s0, v43, v15, s0
	v_lshlrev_b64 v[15:16], 2, v[32:33]
	v_lshlrev_b64 v[32:33], 2, v[34:35]
	v_mad_u64_u32 v[34:35], null, s9, v20, v[6:7]
	v_mad_u64_u32 v[38:39], null, s8, v19, 0
	;; [unrolled: 1-line block ×3, first 2 shown]
	v_add_co_u32 v15, s0, v30, v15
	v_mov_b32_e32 v37, v34
	v_add_co_ci_u32_e64 v16, s0, v43, v16, s0
	v_mov_b32_e32 v6, v39
	v_mov_b32_e32 v17, v41
	v_lshlrev_b64 v[34:35], 2, v[36:37]
	v_add_co_u32 v32, s0, v30, v32
	v_mad_u64_u32 v[36:37], null, s9, v19, v[6:7]
	v_mad_u64_u32 v[41:42], null, s9, v18, v[17:18]
	v_add_co_ci_u32_e64 v33, s0, v43, v33, s0
	s_clause 0x7
	global_load_dword v6, v[2:3], off
	global_load_dword v17, v[4:5], off
	global_load_dword v8, v[8:9], off
	global_load_dword v9, v[11:12], off
	global_load_dword v11, v[0:1], off
	global_load_dword v12, v[13:14], off
	global_load_dword v13, v[15:16], off
	global_load_dword v14, v[32:33], off
	v_add_co_u32 v0, s0, v30, v34
	v_mov_b32_e32 v39, v36
	v_lshlrev_b64 v[4:5], 2, v[40:41]
	v_add_co_ci_u32_e64 v1, s0, v43, v35, s0
	s_clause 0x7
	global_load_dword v15, v24, s[24:25]
	global_load_dword v16, v24, s[24:25] offset:32
	global_load_dword v32, v24, s[24:25] offset:64
	global_load_dword v33, v24, s[24:25] offset:96
	global_load_dword v34, v24, s[24:25] offset:128
	global_load_dword v35, v24, s[24:25] offset:160
	global_load_dword v36, v24, s[24:25] offset:192
	global_load_dword v37, v24, s[24:25] offset:224
	v_lshlrev_b64 v[2:3], 2, v[38:39]
	v_add_co_u32 v2, s0, v30, v2
	v_add_co_ci_u32_e64 v3, s0, v43, v3, s0
	v_add_co_u32 v4, s0, v30, v4
	v_add_co_ci_u32_e64 v5, s0, v43, v5, s0
	global_load_dword v0, v[0:1], off
	global_load_dword v1, v24, s[24:25] offset:256
	global_load_dword v2, v[2:3], off
	global_load_dword v3, v24, s[24:25] offset:288
	;; [unrolled: 2-line block ×3, first 2 shown]
	v_lshl_add_u32 v30, v10, 2, v24
	s_waitcnt vmcnt(21)
	v_lshrrev_b32_e32 v38, 16, v6
	s_waitcnt vmcnt(20)
	v_lshrrev_b32_e32 v40, 16, v17
	;; [unrolled: 2-line block ×7, first 2 shown]
	s_waitcnt vmcnt(13)
	v_mul_f16_sdwa v39, v15, v6 dst_sel:DWORD dst_unused:UNUSED_PAD src0_sel:WORD_1 src1_sel:DWORD
	s_waitcnt vmcnt(12)
	v_mul_f16_sdwa v41, v16, v17 dst_sel:DWORD dst_unused:UNUSED_PAD src0_sel:WORD_1 src1_sel:DWORD
	s_waitcnt vmcnt(11)
	v_mul_f16_sdwa v43, v32, v8 dst_sel:DWORD dst_unused:UNUSED_PAD src0_sel:WORD_1 src1_sel:DWORD
	s_waitcnt vmcnt(10)
	v_mul_f16_sdwa v45, v33, v9 dst_sel:DWORD dst_unused:UNUSED_PAD src0_sel:WORD_1 src1_sel:DWORD
	s_waitcnt vmcnt(9)
	v_mul_f16_sdwa v47, v34, v11 dst_sel:DWORD dst_unused:UNUSED_PAD src0_sel:WORD_1 src1_sel:DWORD
	s_waitcnt vmcnt(8)
	v_mul_f16_sdwa v49, v35, v12 dst_sel:DWORD dst_unused:UNUSED_PAD src0_sel:WORD_1 src1_sel:DWORD
	s_waitcnt vmcnt(7)
	v_mul_f16_sdwa v51, v36, v13 dst_sel:DWORD dst_unused:UNUSED_PAD src0_sel:WORD_1 src1_sel:DWORD
	v_lshrrev_b32_e32 v52, 16, v14
	s_waitcnt vmcnt(6)
	v_mul_f16_sdwa v53, v37, v14 dst_sel:DWORD dst_unused:UNUSED_PAD src0_sel:WORD_1 src1_sel:DWORD
	v_mul_f16_sdwa v60, v15, v38 dst_sel:DWORD dst_unused:UNUSED_PAD src0_sel:WORD_1 src1_sel:DWORD
	v_fma_f16 v38, v15, v38, -v39
	v_mul_f16_sdwa v39, v16, v40 dst_sel:DWORD dst_unused:UNUSED_PAD src0_sel:WORD_1 src1_sel:DWORD
	v_fma_f16 v40, v16, v40, -v41
	;; [unrolled: 2-line block ×4, first 2 shown]
	s_waitcnt vmcnt(5)
	v_lshrrev_b32_e32 v54, 16, v0
	s_waitcnt vmcnt(4)
	v_mul_f16_sdwa v55, v1, v0 dst_sel:DWORD dst_unused:UNUSED_PAD src0_sel:WORD_1 src1_sel:DWORD
	s_waitcnt vmcnt(3)
	v_lshrrev_b32_e32 v56, 16, v2
	s_waitcnt vmcnt(2)
	v_mul_f16_sdwa v57, v3, v2 dst_sel:DWORD dst_unused:UNUSED_PAD src0_sel:WORD_1 src1_sel:DWORD
	s_waitcnt vmcnt(1)
	v_lshrrev_b32_e32 v58, 16, v4
	v_mul_f16_sdwa v45, v34, v46 dst_sel:DWORD dst_unused:UNUSED_PAD src0_sel:WORD_1 src1_sel:DWORD
	v_fma_f16 v46, v34, v46, -v47
	v_mul_f16_sdwa v47, v35, v48 dst_sel:DWORD dst_unused:UNUSED_PAD src0_sel:WORD_1 src1_sel:DWORD
	v_fma_f16 v48, v35, v48, -v49
	v_mul_f16_sdwa v49, v36, v50 dst_sel:DWORD dst_unused:UNUSED_PAD src0_sel:WORD_1 src1_sel:DWORD
	v_fma_f16 v50, v36, v50, -v51
	v_mul_f16_sdwa v51, v37, v52 dst_sel:DWORD dst_unused:UNUSED_PAD src0_sel:WORD_1 src1_sel:DWORD
	v_fma_f16 v52, v37, v52, -v53
	v_mul_f16_sdwa v53, v1, v54 dst_sel:DWORD dst_unused:UNUSED_PAD src0_sel:WORD_1 src1_sel:DWORD
	s_waitcnt vmcnt(0)
	v_mul_f16_sdwa v59, v5, v4 dst_sel:DWORD dst_unused:UNUSED_PAD src0_sel:WORD_1 src1_sel:DWORD
	v_fma_f16 v54, v1, v54, -v55
	v_mul_f16_sdwa v55, v3, v56 dst_sel:DWORD dst_unused:UNUSED_PAD src0_sel:WORD_1 src1_sel:DWORD
	v_fma_f16 v56, v3, v56, -v57
	v_mul_f16_sdwa v57, v5, v58 dst_sel:DWORD dst_unused:UNUSED_PAD src0_sel:WORD_1 src1_sel:DWORD
	v_fmac_f16_e32 v60, v15, v6
	v_fmac_f16_e32 v39, v16, v17
	v_fmac_f16_e32 v41, v32, v8
	v_fmac_f16_e32 v43, v33, v9
	v_fmac_f16_e32 v45, v34, v11
	v_fmac_f16_e32 v47, v35, v12
	v_fmac_f16_e32 v49, v36, v13
	v_fmac_f16_e32 v51, v37, v14
	v_fmac_f16_e32 v53, v1, v0
	v_fma_f16 v58, v5, v58, -v59
	v_fmac_f16_e32 v55, v3, v2
	v_fmac_f16_e32 v57, v5, v4
	v_pack_b32_f16 v0, v60, v38
	v_pack_b32_f16 v1, v39, v40
	;; [unrolled: 1-line block ×11, first 2 shown]
	ds_write_b32 v31, v0
	ds_write2_b32 v30, v1, v2 offset0:8 offset1:16
	ds_write2_b32 v30, v3, v4 offset0:24 offset1:32
	ds_write2_b32 v30, v5, v6 offset0:40 offset1:48
	ds_write2_b32 v30, v8, v9 offset0:56 offset1:64
	ds_write2_b32 v30, v11, v12 offset0:72 offset1:80
.LBB0_3:
	s_or_b32 exec_lo, exec_lo, s1
	s_load_dwordx2 s[0:1], s[4:5], 0x20
	v_mov_b32_e32 v6, 0
	v_lshlrev_b32_e32 v32, 2, v10
	s_waitcnt lgkmcnt(0)
	s_barrier
	buffer_gl0_inv
                                        ; implicit-def: $vgpr1
                                        ; implicit-def: $vgpr3
                                        ; implicit-def: $vgpr5
                                        ; implicit-def: $vgpr13
                                        ; implicit-def: $vgpr15
	s_and_saveexec_b32 s2, vcc_lo
	s_cbranch_execz .LBB0_5
; %bb.4:
	v_lshl_add_u32 v0, v26, 2, v32
	ds_read2_b32 v[14:15], v0 offset0:8 offset1:16
	ds_read2_b32 v[12:13], v0 offset0:24 offset1:32
	;; [unrolled: 1-line block ×5, first 2 shown]
	ds_read_b32 v6, v31
.LBB0_5:
	s_or_b32 exec_lo, exec_lo, s2
	s_waitcnt lgkmcnt(1)
	v_pk_add_f16 v17, v14, v1 neg_lo:[0,1] neg_hi:[0,1]
	v_mov_b32_e32 v8, 0xb853
	v_pk_add_f16 v16, v1, v14
	v_pk_add_f16 v30, v15, v0 neg_lo:[0,1] neg_hi:[0,1]
	v_mov_b32_e32 v11, 0xbb47
	v_mul_f16_e32 v50, 0xbb47, v17
	v_mul_f16_sdwa v45, v17, v8 dst_sel:DWORD dst_unused:UNUSED_PAD src0_sel:WORD_1 src1_sel:DWORD
	v_lshrrev_b32_e32 v59, 16, v16
	v_pk_add_f16 v37, v0, v15
	v_mul_f16_sdwa v46, v30, v11 dst_sel:DWORD dst_unused:UNUSED_PAD src0_sel:WORD_1 src1_sel:DWORD
	v_mov_b32_e32 v9, 0xbbeb
	v_fmamk_f16 v33, v16, 0x3abb, v45
	v_mul_f16_e32 v57, 0xbbeb, v17
	v_fma_f16 v35, v59, 0x36a6, -v50
	v_fmamk_f16 v38, v37, 0x36a6, v46
	v_lshrrev_b32_e32 v60, 16, v37
	s_waitcnt lgkmcnt(0)
	v_add_f16_e32 v33, v33, v6
	v_mul_f16_e32 v53, 0xba0c, v30
	v_pk_add_f16 v40, v12, v3 neg_lo:[0,1] neg_hi:[0,1]
	v_mul_f16_sdwa v54, v17, v9 dst_sel:DWORD dst_unused:UNUSED_PAD src0_sel:WORD_1 src1_sel:DWORD
	v_fma_f16 v11, v59, 0xb08e, -v57
	v_add_f16_sdwa v35, v35, v6 dst_sel:DWORD dst_unused:UNUSED_PAD src0_sel:DWORD src1_sel:WORD_1
	v_mov_b32_e32 v39, 0x3482
	v_add_f16_e32 v33, v38, v33
	v_fma_f16 v41, v60, 0xb93d, -v53
	v_mul_f16_e32 v64, 0x3482, v30
	v_pk_add_f16 v38, v3, v12
	v_mul_f16_sdwa v48, v40, v9 dst_sel:DWORD dst_unused:UNUSED_PAD src0_sel:WORD_1 src1_sel:DWORD
	v_fmamk_f16 v36, v16, 0xb08e, v54
	v_add_f16_sdwa v11, v11, v6 dst_sel:DWORD dst_unused:UNUSED_PAD src0_sel:DWORD src1_sel:WORD_1
	v_mul_f16_sdwa v58, v30, v39 dst_sel:DWORD dst_unused:UNUSED_PAD src0_sel:WORD_1 src1_sel:DWORD
	v_add_f16_e32 v9, v41, v35
	v_fma_f16 v39, v60, 0xbbad, -v64
	v_fmamk_f16 v41, v38, 0xb08e, v48
	v_add_f16_e32 v36, v36, v6
	v_fmamk_f16 v35, v37, 0xbbad, v58
	v_lshrrev_b32_e32 v65, 16, v38
	v_mul_f16_e32 v51, 0x3482, v40
	v_add_f16_e32 v11, v39, v11
	v_add_f16_e32 v33, v41, v33
	v_mov_b32_e32 v42, 0x3b47
	v_pk_add_f16 v41, v13, v2 neg_lo:[0,1] neg_hi:[0,1]
	v_mov_b32_e32 v73, 0xba0c
	v_pk_add_f16 v39, v2, v13
	v_add_f16_e32 v35, v35, v36
	v_fma_f16 v36, v65, 0xbbad, -v51
	v_mul_f16_sdwa v63, v40, v42 dst_sel:DWORD dst_unused:UNUSED_PAD src0_sel:WORD_1 src1_sel:DWORD
	v_mul_f16_sdwa v52, v41, v73 dst_sel:DWORD dst_unused:UNUSED_PAD src0_sel:WORD_1 src1_sel:DWORD
	v_lshrrev_b32_e32 v72, 16, v39
	v_mul_f16_e32 v56, 0x3beb, v41
	v_add_f16_e32 v9, v36, v9
	v_mul_f16_e32 v70, 0x3b47, v40
	v_fmamk_f16 v36, v38, 0x36a6, v63
	v_fmamk_f16 v43, v39, 0xb93d, v52
	v_fma_f16 v61, v72, 0xb08e, -v56
	v_pk_mul_f16 v34, 0x3abb36a6, v16
	v_fma_f16 v42, v65, 0x36a6, -v70
	v_add_f16_e32 v35, v36, v35
	v_add_f16_e32 v33, v43, v33
	;; [unrolled: 1-line block ×3, first 2 shown]
	v_pk_add_f16 v43, v4, v5 neg_lo:[0,1] neg_hi:[0,1]
	v_mov_b32_e32 v9, 0xb482
	v_pk_fma_f16 v44, 0xbb47b853, v17, v34 op_sel:[0,0,1] op_sel_hi:[1,1,0]
	v_pk_mul_f16 v68, 0x36a6b93d, v37
	v_add_f16_e32 v11, v42, v11
	v_pk_add_f16 v42, v5, v4
	v_mul_f16_sdwa v61, v43, v9 dst_sel:DWORD dst_unused:UNUSED_PAD src0_sel:WORD_1 src1_sel:DWORD
	v_pk_fma_f16 v67, 0xbb47b853, v17, v34 op_sel:[0,0,1] op_sel_hi:[1,1,0] neg_lo:[0,1,0] neg_hi:[0,1,0]
	v_pk_fma_f16 v47, 0xba0cbb47, v30, v68 op_sel:[0,0,1] op_sel_hi:[1,1,0]
	v_pk_mul_f16 v69, 0xb08ebbad, v38
	v_mul_f16_sdwa v62, v41, v8 dst_sel:DWORD dst_unused:UNUSED_PAD src0_sel:WORD_1 src1_sel:DWORD
	v_add_f16_sdwa v8, v44, v6 dst_sel:DWORD dst_unused:UNUSED_PAD src0_sel:WORD_1 src1_sel:DWORD
	v_mul_f16_e32 v76, 0xb853, v41
	v_fmamk_f16 v9, v42, 0xbbad, v61
	v_pk_fma_f16 v68, 0xba0cbb47, v30, v68 op_sel:[0,0,1] op_sel_hi:[1,1,0] neg_lo:[0,1,0] neg_hi:[0,1,0]
	v_add_f16_sdwa v34, v67, v6 dst_sel:DWORD dst_unused:UNUSED_PAD src0_sel:DWORD src1_sel:WORD_1
	v_pk_fma_f16 v49, 0x3482bbeb, v40, v69 op_sel:[0,0,1] op_sel_hi:[1,1,0]
	v_pk_mul_f16 v71, 0xb93db08e, v39
	v_add_f16_sdwa v8, v47, v8 dst_sel:DWORD dst_unused:UNUSED_PAD src0_sel:WORD_1 src1_sel:DWORD
	v_fma_f16 v74, v72, 0x3abb, -v76
	v_add_f16_e32 v9, v9, v33
	v_pk_fma_f16 v69, 0x3482bbeb, v40, v69 op_sel:[0,0,1] op_sel_hi:[1,1,0] neg_lo:[0,1,0] neg_hi:[0,1,0]
	v_add_f16_e32 v33, v68, v34
	s_load_dwordx2 s[2:3], s[4:5], 0x8
	v_pk_fma_f16 v55, 0x3bebba0c, v41, v71 op_sel:[0,0,1] op_sel_hi:[1,1,0]
	v_fmamk_f16 v66, v39, 0x3abb, v62
	v_pk_mul_f16 v79, 0xbbad3abb, v42
	v_add_f16_sdwa v8, v49, v8 dst_sel:DWORD dst_unused:UNUSED_PAD src0_sel:WORD_1 src1_sel:DWORD
	v_add_f16_e32 v11, v74, v11
	v_lshrrev_b32_e32 v78, 16, v42
	v_mul_f16_e32 v74, 0x3853, v43
	v_mul_f16_e32 v77, 0xba0c, v43
	v_pk_fma_f16 v71, 0x3bebba0c, v41, v71 op_sel:[0,0,1] op_sel_hi:[1,1,0] neg_lo:[0,1,0] neg_hi:[0,1,0]
	v_add_f16_e32 v33, v69, v33
	v_mul_f16_sdwa v75, v43, v73 dst_sel:DWORD dst_unused:UNUSED_PAD src0_sel:WORD_1 src1_sel:DWORD
	v_add_f16_e32 v80, v66, v35
	v_pk_fma_f16 v66, 0x3853b482, v43, v79 op_sel:[0,0,1] op_sel_hi:[1,1,0]
	v_add_f16_sdwa v8, v55, v8 dst_sel:DWORD dst_unused:UNUSED_PAD src0_sel:WORD_1 src1_sel:DWORD
	v_fma_f16 v34, v78, 0x3abb, -v74
	v_fma_f16 v35, v78, 0xb93d, -v77
	v_pk_fma_f16 v73, 0x3853b482, v43, v79 op_sel:[0,0,1] op_sel_hi:[1,1,0] neg_lo:[0,1,0] neg_hi:[0,1,0]
	v_add_f16_e32 v33, v71, v33
	v_fmamk_f16 v79, v42, 0xb93d, v75
	v_add_f16_sdwa v8, v66, v8 dst_sel:DWORD dst_unused:UNUSED_PAD src0_sel:WORD_1 src1_sel:DWORD
	v_add_f16_e32 v34, v34, v36
	v_add_f16_e32 v36, v35, v11
	;; [unrolled: 1-line block ×4, first 2 shown]
	v_mul_lo_u16 v33, v26, 11
	s_waitcnt lgkmcnt(0)
	s_barrier
	buffer_gl0_inv
	s_and_saveexec_b32 s4, vcc_lo
	s_cbranch_execz .LBB0_7
; %bb.6:
	v_pk_add_f16 v14, v14, v6
	v_mul_f16_e32 v81, 0x36a6, v59
	v_mul_f16_e32 v79, 0x3abb, v16
	;; [unrolled: 1-line block ×4, first 2 shown]
	v_pk_add_f16 v14, v15, v14
	v_add_f16_e32 v50, v50, v81
	v_mul_f16_e32 v83, 0x36a6, v37
	v_add_f16_e32 v57, v57, v59
	v_mul_f16_e32 v59, 0xbbad, v60
	v_pk_add_f16 v12, v12, v14
	v_mul_f16_e32 v86, 0xbbad, v65
	v_add_f16_sdwa v50, v50, v6 dst_sel:DWORD dst_unused:UNUSED_PAD src0_sel:DWORD src1_sel:WORD_1
	v_add_f16_e32 v53, v53, v84
	v_sub_f16_e32 v45, v79, v45
	v_pk_add_f16 v12, v13, v12
	v_mul_f16_e32 v60, 0xb08e, v38
	v_add_f16_sdwa v57, v57, v6 dst_sel:DWORD dst_unused:UNUSED_PAD src0_sel:DWORD src1_sel:WORD_1
	v_add_f16_e32 v59, v64, v59
	v_mul_f16_e32 v64, 0x36a6, v65
	v_mul_f16_e32 v88, 0xb08e, v72
	v_add_f16_e32 v50, v53, v50
	v_add_f16_e32 v15, v51, v86
	;; [unrolled: 1-line block ×3, first 2 shown]
	v_sub_f16_e32 v46, v83, v46
	v_pk_add_f16 v4, v4, v12
	v_mul_f16_e32 v65, 0xb93d, v39
	v_add_f16_e32 v57, v59, v57
	v_add_f16_e32 v59, v70, v64
	v_mul_f16_e32 v64, 0x3abb, v72
	v_mul_f16_e32 v72, 0x3abb, v78
	v_add_f16_e32 v14, v15, v50
	v_add_f16_e32 v15, v56, v88
	;; [unrolled: 1-line block ×3, first 2 shown]
	v_sub_f16_e32 v12, v60, v48
	v_pk_add_f16 v4, v5, v4
	v_mul_f16_e32 v70, 0xbbad, v42
	v_add_f16_e32 v14, v15, v14
	v_add_f16_e32 v15, v74, v72
	;; [unrolled: 1-line block ×3, first 2 shown]
	v_sub_f16_e32 v12, v65, v52
	v_pk_add_f16 v2, v2, v4
	v_bfi_b32 v45, 0xffff, v49, v69
	v_add_f16_e32 v14, v15, v14
	v_bfi_b32 v15, 0xffff, v44, v67
	v_add_f16_e32 v5, v12, v5
	v_sub_f16_e32 v12, v70, v61
	v_pk_add_f16 v2, v3, v2
	v_bfi_b32 v44, 0xffff, v47, v68
	v_pk_add_f16 v3, v15, v6 op_sel:[0,1] op_sel_hi:[1,0]
	v_pk_mul_f16 v15, 0xbbad, v16 op_sel_hi:[0,1]
	v_add_f16_e32 v5, v12, v5
	v_and_b32_e32 v12, 0xffff, v33
	v_pk_add_f16 v0, v0, v2
	v_pk_add_f16 v2, v44, v3
	v_bfi_b32 v4, 0xffff, v55, v71
	v_pk_mul_f16 v44, 0x3abb, v37 op_sel_hi:[0,1]
	v_add_lshl_u32 v12, v10, v12, 2
	v_pk_add_f16 v0, v1, v0
	v_pk_add_f16 v1, v45, v2
	v_alignbit_b32 v80, s0, v6, 16
	v_bfi_b32 v46, 0xffff, v66, v73
	v_pk_fma_f16 v3, 0xb482, v17, v15 op_sel:[0,0,1] op_sel_hi:[0,1,0] neg_lo:[0,1,0] neg_hi:[0,1,0]
	ds_write_b32 v12, v0
	v_pk_fma_f16 v0, 0xb482, v17, v15 op_sel:[0,0,1] op_sel_hi:[0,1,0]
	v_pk_fma_f16 v45, 0x3853, v30, v44 op_sel:[0,0,1] op_sel_hi:[0,1,0] neg_lo:[0,1,0] neg_hi:[0,1,0]
	v_pk_mul_f16 v47, 0xb93d, v38 op_sel_hi:[0,1]
	v_pk_add_f16 v1, v4, v1
	v_pk_fma_f16 v44, 0x3853, v30, v44 op_sel:[0,0,1] op_sel_hi:[0,1,0]
	v_pk_add_f16 v0, v0, v6 op_sel:[0,1] op_sel_hi:[1,0]
	v_pk_add_f16 v2, v3, v80
	v_pk_mul_f16 v15, 0x36a6, v39 op_sel_hi:[0,1]
	v_pk_add_f16 v1, v46, v1
	v_alignbit_b32 v3, s0, v3, 16
	v_pk_add_f16 v0, v44, v0
	v_pk_fma_f16 v44, 0xba0c, v40, v47 op_sel:[0,0,1] op_sel_hi:[0,1,0]
	v_pk_add_f16 v2, v45, v2
	v_pk_fma_f16 v4, 0xba0c, v40, v47 op_sel:[0,0,1] op_sel_hi:[0,1,0] neg_lo:[0,1,0] neg_hi:[0,1,0]
	v_pk_fma_f16 v46, 0x3b47, v41, v15 op_sel:[0,0,1] op_sel_hi:[0,1,0] neg_lo:[0,1,0] neg_hi:[0,1,0]
	v_alignbit_b32 v14, v14, v1, 16
	v_pk_add_f16 v0, v44, v0
	v_pk_fma_f16 v15, 0x3b47, v41, v15 op_sel:[0,0,1] op_sel_hi:[0,1,0]
	v_pk_add_f16 v3, v3, v6
	v_alignbit_b32 v44, s0, v45, 16
	v_pack_b32_f16 v1, v5, v1
	v_pk_mul_f16 v5, 0xba0c, v17 op_sel_hi:[0,1]
	v_mul_f16_e32 v82, 0xb08e, v16
	v_pk_add_f16 v2, v4, v2
	v_pk_add_f16 v0, v15, v0
	;; [unrolled: 1-line block ×3, first 2 shown]
	v_alignbit_b32 v4, s0, v4, 16
	v_pk_fma_f16 v15, 0xb93d, v16, v5 op_sel:[0,0,1] op_sel_hi:[0,1,0]
	v_pk_fma_f16 v5, 0xb93d, v16, v5 op_sel:[0,0,1] op_sel_hi:[0,1,0] neg_lo:[0,0,1] neg_hi:[0,0,1]
	v_pk_mul_f16 v16, 0x3beb, v30 op_sel_hi:[0,1]
	v_mul_f16_e32 v85, 0xbbad, v37
	v_sub_f16_e32 v54, v82, v54
	v_pk_add_f16 v3, v4, v3
	v_alignbit_b32 v4, s0, v46, 16
	v_bfi_b32 v30, 0xffff, v15, v5
	v_pk_fma_f16 v44, 0xb08e, v37, v16 op_sel:[0,0,1] op_sel_hi:[0,1,0]
	v_pk_fma_f16 v16, 0xb08e, v37, v16 op_sel:[0,0,1] op_sel_hi:[0,1,0] neg_lo:[0,0,1] neg_hi:[0,0,1]
	v_pk_mul_f16 v37, 0xb853, v40 op_sel_hi:[0,1]
	v_lshrrev_b32_e32 v15, 16, v15
	v_mul_f16_e32 v87, 0x36a6, v38
	v_add_f16_e32 v54, v54, v6
	v_sub_f16_e32 v58, v85, v58
	v_pk_add_f16 v3, v4, v3
	v_pk_add_f16 v4, v30, v6
	v_bfi_b32 v30, 0xffff, v44, v16
	v_pk_fma_f16 v40, 0x3abb, v38, v37 op_sel:[0,0,1] op_sel_hi:[0,1,0]
	v_pk_fma_f16 v37, 0x3abb, v38, v37 op_sel:[0,0,1] op_sel_hi:[0,1,0] neg_lo:[0,0,1] neg_hi:[0,0,1]
	v_add_f16_sdwa v15, v15, v6 dst_sel:DWORD dst_unused:UNUSED_PAD src0_sel:DWORD src1_sel:WORD_1
	v_add_f16_e32 v5, v5, v6
	v_mul_f16_e32 v89, 0x3abb, v39
	v_add_f16_e32 v54, v58, v54
	v_sub_f16_e32 v58, v87, v63
	v_pk_mul_f16 v38, 0xb482, v41 op_sel_hi:[0,1]
	v_pk_add_f16 v4, v30, v4
	v_bfi_b32 v6, 0xffff, v40, v37
	v_add_f16_sdwa v15, v44, v15 dst_sel:DWORD dst_unused:UNUSED_PAD src0_sel:WORD_1 src1_sel:DWORD
	v_add_f16_e32 v5, v16, v5
	v_pk_mul_f16 v48, 0xb08e, v42 op_sel_hi:[0,1]
	v_add_f16_e32 v57, v59, v57
	v_add_f16_e32 v59, v76, v64
	v_mul_f16_e32 v64, 0xb93d, v42
	v_mul_f16_e32 v76, 0xb93d, v78
	v_add_f16_e32 v54, v58, v54
	v_sub_f16_e32 v58, v89, v62
	v_pk_fma_f16 v30, 0xbbad, v39, v38 op_sel:[0,0,1] op_sel_hi:[0,1,0]
	v_pk_fma_f16 v16, 0xbbad, v39, v38 op_sel:[0,0,1] op_sel_hi:[0,1,0] neg_lo:[0,0,1] neg_hi:[0,0,1]
	v_pk_mul_f16 v38, 0x3b47, v43 op_sel_hi:[0,1]
	v_pk_add_f16 v4, v6, v4
	v_add_f16_sdwa v6, v40, v15 dst_sel:DWORD dst_unused:UNUSED_PAD src0_sel:WORD_1 src1_sel:DWORD
	v_add_f16_e32 v5, v37, v5
	v_pk_fma_f16 v47, 0xbbeb, v43, v48 op_sel:[0,0,1] op_sel_hi:[0,1,0] neg_lo:[0,1,0] neg_hi:[0,1,0]
	v_add_f16_e32 v57, v59, v57
	v_add_f16_e32 v59, v77, v76
	;; [unrolled: 1-line block ×3, first 2 shown]
	v_sub_f16_e32 v13, v64, v75
	v_pk_fma_f16 v37, 0x36a6, v42, v38 op_sel:[0,0,1] op_sel_hi:[0,1,0]
	v_pk_fma_f16 v38, 0x36a6, v42, v38 op_sel:[0,0,1] op_sel_hi:[0,1,0] neg_lo:[0,0,1] neg_hi:[0,0,1]
	v_add_f16_sdwa v6, v30, v6 dst_sel:DWORD dst_unused:UNUSED_PAD src0_sel:WORD_1 src1_sel:DWORD
	v_add_f16_e32 v5, v16, v5
	v_pk_add_f16 v2, v46, v2
	v_pk_fma_f16 v17, 0xbbeb, v43, v48 op_sel:[0,0,1] op_sel_hi:[0,1,0]
	v_bfi_b32 v15, 0xffff, v30, v16
	v_alignbit_b32 v16, s0, v47, 16
	v_add_f16_e32 v51, v59, v57
	v_add_f16_e32 v13, v13, v53
	v_add_f16_sdwa v6, v37, v6 dst_sel:DWORD dst_unused:UNUSED_PAD src0_sel:WORD_1 src1_sel:DWORD
	v_add_f16_e32 v5, v38, v5
	v_pk_add_f16 v2, v47, v2
	v_pk_add_f16 v0, v17, v0
	v_pk_add_f16 v3, v16, v3
	v_pk_add_f16 v4, v15, v4
	v_bfi_b32 v15, 0xffff, v37, v38
	v_pack_b32_f16 v13, v13, v51
	v_pack_b32_f16 v5, v5, v6
	v_alignbit_b32 v2, v2, v0, 16
	v_pack_b32_f16 v0, v3, v0
	v_pk_add_f16 v4, v15, v4
	v_perm_b32 v3, v36, v11, 0x5040100
	v_perm_b32 v6, v35, v9, 0x5040100
	;; [unrolled: 1-line block ×3, first 2 shown]
	ds_write2_b32 v12, v1, v14 offset0:1 offset1:2
	ds_write2_b32 v12, v13, v5 offset0:3 offset1:4
	;; [unrolled: 1-line block ×5, first 2 shown]
.LBB0_7:
	s_or_b32 exec_lo, exec_lo, s4
	v_mad_u64_u32 v[4:5], null, v26, 28, s[2:3]
	s_load_dwordx4 s[20:23], s[0:1], 0x0
	s_waitcnt lgkmcnt(0)
	s_barrier
	buffer_gl0_inv
	v_add_lshl_u32 v37, v10, v26, 2
	v_lshl_add_u32 v30, v26, 2, v32
	s_clause 0x1
	global_load_dwordx4 v[0:3], v[4:5], off
	global_load_dwordx3 v[4:6], v[4:5], off offset:16
	ds_read2_b32 v[12:13], v37 offset1:11
	ds_read2_b32 v[14:15], v37 offset0:22 offset1:33
	ds_read2_b32 v[16:17], v37 offset0:44 offset1:55
	;; [unrolled: 1-line block ×3, first 2 shown]
	s_waitcnt lgkmcnt(3)
	v_lshrrev_b32_e32 v40, 16, v13
	s_waitcnt lgkmcnt(2)
	v_lshrrev_b32_e32 v41, 16, v14
	v_lshrrev_b32_e32 v42, 16, v15
	s_waitcnt lgkmcnt(1)
	v_lshrrev_b32_e32 v43, 16, v16
	;; [unrolled: 3-line block ×3, first 2 shown]
	v_lshrrev_b32_e32 v46, 16, v39
	v_lshrrev_b32_e32 v10, 16, v12
	s_waitcnt vmcnt(1)
	v_mul_f16_sdwa v47, v40, v0 dst_sel:DWORD dst_unused:UNUSED_PAD src0_sel:DWORD src1_sel:WORD_1
	v_mul_f16_sdwa v48, v13, v0 dst_sel:DWORD dst_unused:UNUSED_PAD src0_sel:DWORD src1_sel:WORD_1
	;; [unrolled: 1-line block ×8, first 2 shown]
	s_waitcnt vmcnt(0)
	v_mul_f16_sdwa v55, v44, v4 dst_sel:DWORD dst_unused:UNUSED_PAD src0_sel:DWORD src1_sel:WORD_1
	v_mul_f16_sdwa v56, v17, v4 dst_sel:DWORD dst_unused:UNUSED_PAD src0_sel:DWORD src1_sel:WORD_1
	v_mul_f16_sdwa v57, v45, v5 dst_sel:DWORD dst_unused:UNUSED_PAD src0_sel:DWORD src1_sel:WORD_1
	v_mul_f16_sdwa v58, v38, v5 dst_sel:DWORD dst_unused:UNUSED_PAD src0_sel:DWORD src1_sel:WORD_1
	v_mul_f16_sdwa v59, v46, v6 dst_sel:DWORD dst_unused:UNUSED_PAD src0_sel:DWORD src1_sel:WORD_1
	v_mul_f16_sdwa v60, v39, v6 dst_sel:DWORD dst_unused:UNUSED_PAD src0_sel:DWORD src1_sel:WORD_1
	v_fma_f16 v13, v13, v0, -v47
	v_fmac_f16_e32 v48, v40, v0
	v_fma_f16 v14, v14, v1, -v49
	v_fmac_f16_e32 v50, v41, v1
	;; [unrolled: 2-line block ×7, first 2 shown]
	v_sub_f16_e32 v16, v12, v16
	v_sub_f16_e32 v40, v10, v54
	;; [unrolled: 1-line block ×8, first 2 shown]
	v_fma_f16 v12, v12, 2.0, -v16
	v_fma_f16 v44, v10, 2.0, -v40
	;; [unrolled: 1-line block ×8, first 2 shown]
	v_sub_f16_e32 v47, v16, v41
	v_add_f16_e32 v38, v40, v38
	v_sub_f16_e32 v43, v17, v43
	v_add_f16_e32 v39, v42, v39
	v_sub_f16_e32 v48, v12, v10
	v_sub_f16_e32 v14, v44, v14
	v_fma_f16 v16, v16, 2.0, -v47
	v_fma_f16 v49, v40, 2.0, -v38
	v_sub_f16_e32 v15, v13, v15
	v_sub_f16_e32 v41, v45, v46
	v_fma_f16 v17, v17, 2.0, -v43
	v_fma_f16 v46, v42, 2.0, -v39
	v_fmamk_f16 v10, v43, 0x39a8, v47
	v_fmamk_f16 v40, v39, 0x39a8, v38
	v_fma_f16 v50, v12, 2.0, -v48
	v_fma_f16 v51, v44, 2.0, -v14
	;; [unrolled: 1-line block ×4, first 2 shown]
	v_fmamk_f16 v12, v17, 0xb9a8, v16
	v_fmamk_f16 v42, v46, 0xb9a8, v49
	v_sub_f16_e32 v13, v48, v41
	v_add_f16_e32 v41, v14, v15
	v_fmac_f16_e32 v10, 0xb9a8, v39
	v_fmac_f16_e32 v40, 0x39a8, v43
	v_sub_f16_e32 v15, v50, v44
	v_sub_f16_e32 v43, v51, v45
	v_fmac_f16_e32 v12, 0xb9a8, v46
	v_fmac_f16_e32 v42, 0x39a8, v17
	v_fma_f16 v17, v48, 2.0, -v13
	v_fma_f16 v45, v14, 2.0, -v41
	;; [unrolled: 1-line block ×8, first 2 shown]
	v_pack_b32_f16 v47, v13, v41
	v_pack_b32_f16 v48, v10, v40
	;; [unrolled: 1-line block ×8, first 2 shown]
	ds_write2_b32 v30, v47, v48 offset0:66 offset1:77
	ds_write2_b32 v30, v49, v50 offset0:22 offset1:33
	;; [unrolled: 1-line block ×3, first 2 shown]
	ds_write2_b32 v30, v53, v54 offset1:11
	s_waitcnt lgkmcnt(0)
	s_barrier
	buffer_gl0_inv
	s_and_saveexec_b32 s2, vcc_lo
	s_cbranch_execz .LBB0_9
; %bb.8:
	global_load_dword v47, v24, s[24:25] offset:352
	s_add_u32 s0, s24, 0x160
	s_addc_u32 s1, s25, 0
	s_clause 0x9
	global_load_dword v57, v24, s[0:1] offset:32
	global_load_dword v58, v24, s[0:1] offset:64
	;; [unrolled: 1-line block ×10, first 2 shown]
	ds_read_b32 v48, v31
	s_waitcnt lgkmcnt(0)
	v_lshrrev_b32_e32 v49, 16, v48
	s_waitcnt vmcnt(10)
	v_mul_f16_sdwa v50, v49, v47 dst_sel:DWORD dst_unused:UNUSED_PAD src0_sel:DWORD src1_sel:WORD_1
	v_mul_f16_sdwa v51, v48, v47 dst_sel:DWORD dst_unused:UNUSED_PAD src0_sel:DWORD src1_sel:WORD_1
	v_fma_f16 v48, v48, v47, -v50
	v_fmac_f16_e32 v51, v49, v47
	v_pack_b32_f16 v47, v48, v51
	ds_write_b32 v31, v47
	ds_read2_b32 v[47:48], v30 offset0:8 offset1:16
	ds_read2_b32 v[49:50], v30 offset0:24 offset1:32
	;; [unrolled: 1-line block ×5, first 2 shown]
	s_waitcnt lgkmcnt(4)
	v_lshrrev_b32_e32 v67, 16, v47
	s_waitcnt vmcnt(9)
	v_mul_f16_sdwa v68, v47, v57 dst_sel:DWORD dst_unused:UNUSED_PAD src0_sel:DWORD src1_sel:WORD_1
	v_lshrrev_b32_e32 v69, 16, v48
	s_waitcnt vmcnt(8)
	v_mul_f16_sdwa v70, v48, v58 dst_sel:DWORD dst_unused:UNUSED_PAD src0_sel:DWORD src1_sel:WORD_1
	s_waitcnt lgkmcnt(3)
	v_lshrrev_b32_e32 v71, 16, v49
	s_waitcnt vmcnt(7)
	v_mul_f16_sdwa v72, v49, v59 dst_sel:DWORD dst_unused:UNUSED_PAD src0_sel:DWORD src1_sel:WORD_1
	v_lshrrev_b32_e32 v73, 16, v50
	s_waitcnt vmcnt(6)
	v_mul_f16_sdwa v74, v50, v60 dst_sel:DWORD dst_unused:UNUSED_PAD src0_sel:DWORD src1_sel:WORD_1
	;; [unrolled: 7-line block ×4, first 2 shown]
	s_waitcnt lgkmcnt(0)
	v_lshrrev_b32_e32 v83, 16, v55
	s_waitcnt vmcnt(1)
	v_mul_f16_sdwa v84, v55, v65 dst_sel:DWORD dst_unused:UNUSED_PAD src0_sel:DWORD src1_sel:WORD_1
	v_lshrrev_b32_e32 v85, 16, v56
	v_mul_f16_sdwa v87, v67, v57 dst_sel:DWORD dst_unused:UNUSED_PAD src0_sel:DWORD src1_sel:WORD_1
	v_fmac_f16_e32 v68, v67, v57
	v_mul_f16_sdwa v67, v69, v58 dst_sel:DWORD dst_unused:UNUSED_PAD src0_sel:DWORD src1_sel:WORD_1
	v_fmac_f16_e32 v70, v69, v58
	;; [unrolled: 2-line block ×7, first 2 shown]
	v_mul_f16_sdwa v79, v81, v64 dst_sel:DWORD dst_unused:UNUSED_PAD src0_sel:DWORD src1_sel:WORD_1
	s_waitcnt vmcnt(0)
	v_mul_f16_sdwa v86, v56, v66 dst_sel:DWORD dst_unused:UNUSED_PAD src0_sel:DWORD src1_sel:WORD_1
	v_fmac_f16_e32 v82, v81, v64
	v_mul_f16_sdwa v81, v83, v65 dst_sel:DWORD dst_unused:UNUSED_PAD src0_sel:DWORD src1_sel:WORD_1
	v_fmac_f16_e32 v84, v83, v65
	v_mul_f16_sdwa v83, v85, v66 dst_sel:DWORD dst_unused:UNUSED_PAD src0_sel:DWORD src1_sel:WORD_1
	v_fma_f16 v47, v47, v57, -v87
	v_fma_f16 v48, v48, v58, -v67
	;; [unrolled: 1-line block ×8, first 2 shown]
	v_fmac_f16_e32 v86, v85, v66
	v_fma_f16 v55, v55, v65, -v81
	v_fma_f16 v56, v56, v66, -v83
	v_pack_b32_f16 v47, v47, v68
	v_pack_b32_f16 v48, v48, v70
	;; [unrolled: 1-line block ×10, first 2 shown]
	ds_write2_b32 v30, v47, v48 offset0:8 offset1:16
	ds_write2_b32 v30, v49, v50 offset0:24 offset1:32
	;; [unrolled: 1-line block ×5, first 2 shown]
.LBB0_9:
	s_or_b32 exec_lo, exec_lo, s2
	s_waitcnt lgkmcnt(0)
	s_barrier
	buffer_gl0_inv
	s_and_saveexec_b32 s0, vcc_lo
	s_cbranch_execz .LBB0_11
; %bb.10:
	ds_read_b32 v38, v31
	ds_read2_b32 v[16:17], v30 offset0:8 offset1:16
	ds_read2_b32 v[14:15], v30 offset0:24 offset1:32
	;; [unrolled: 1-line block ×5, first 2 shown]
	s_waitcnt lgkmcnt(5)
	v_lshrrev_b32_e32 v39, 16, v38
	s_waitcnt lgkmcnt(4)
	v_lshrrev_b32_e32 v46, 16, v16
	v_lshrrev_b32_e32 v45, 16, v17
	s_waitcnt lgkmcnt(3)
	v_lshrrev_b32_e32 v44, 16, v14
	;; [unrolled: 3-line block ×5, first 2 shown]
	v_lshrrev_b32_e32 v35, 16, v9
.LBB0_11:
	s_or_b32 exec_lo, exec_lo, s0
	s_barrier
	buffer_gl0_inv
	s_and_saveexec_b32 s0, vcc_lo
	s_cbranch_execz .LBB0_13
; %bb.12:
	v_sub_f16_e32 v47, v16, v9
	v_add_f16_e32 v48, v35, v46
	v_sub_f16_e32 v49, v17, v8
	v_add_f16_e32 v50, v34, v45
	v_sub_f16_e32 v51, v14, v11
	v_mul_f16_e32 v52, 0xba0c, v47
	v_add_f16_e32 v53, v36, v44
	v_mul_f16_e32 v56, 0x3beb, v49
	v_sub_f16_e32 v59, v46, v35
	v_mul_f16_e32 v60, 0xb853, v51
	v_fmamk_f16 v57, v48, 0xb93d, v52
	v_sub_f16_e32 v54, v15, v10
	v_fmamk_f16 v61, v50, 0xb08e, v56
	v_add_f16_e32 v58, v9, v16
	v_sub_f16_e32 v62, v45, v34
	v_add_f16_e32 v57, v39, v57
	v_mul_f16_e32 v64, 0xba0c, v59
	v_fmamk_f16 v65, v53, 0x3abb, v60
	v_add_f16_e32 v55, v40, v43
	v_mul_f16_e32 v63, 0xb482, v54
	v_add_f16_e32 v57, v61, v57
	v_add_f16_e32 v61, v8, v17
	v_mul_f16_e32 v66, 0x3beb, v62
	v_fma_f16 v67, v58, 0xb93d, -v64
	v_fmamk_f16 v68, v55, 0xbbad, v63
	v_add_f16_e32 v57, v65, v57
	v_sub_f16_e32 v65, v44, v36
	v_sub_f16_e32 v69, v12, v13
	v_add_f16_e32 v67, v38, v67
	v_fma_f16 v70, v61, 0xb08e, -v66
	v_add_f16_e32 v71, v11, v14
	v_mul_f16_e32 v72, 0xb853, v65
	v_sub_f16_e32 v74, v43, v40
	v_mul_f16_e32 v73, 0x3b47, v69
	v_add_f16_e32 v75, v41, v42
	v_add_f16_e32 v67, v70, v67
	v_fma_f16 v70, v71, 0x3abb, -v72
	v_add_f16_e32 v76, v10, v15
	v_mul_f16_e32 v77, 0xb482, v74
	v_add_f16_e32 v57, v68, v57
	v_mul_f16_e32 v68, 0xb482, v47
	v_fmamk_f16 v78, v75, 0x36a6, v73
	v_add_f16_e32 v67, v70, v67
	v_fma_f16 v70, v76, 0xbbad, -v77
	v_mul_f16_e32 v80, 0x3853, v49
	v_fmamk_f16 v79, v48, 0xbbad, v68
	v_add_f16_e32 v57, v78, v57
	v_mul_f16_e32 v81, 0xba0c, v51
	v_add_f16_e32 v67, v70, v67
	v_sub_f16_e32 v70, v42, v41
	v_add_f16_e32 v78, v39, v79
	v_fmamk_f16 v79, v50, 0x3abb, v80
	v_fma_f16 v68, v48, 0xbbad, -v68
	v_add_f16_e32 v82, v13, v12
	v_mul_f16_e32 v83, 0x3b47, v70
	v_mul_f16_e32 v84, 0xb482, v59
	v_add_f16_e32 v78, v79, v78
	v_fmamk_f16 v79, v53, 0xb93d, v81
	v_mul_f16_e32 v85, 0x3b47, v54
	v_add_f16_e32 v68, v39, v68
	v_fma_f16 v80, v50, 0x3abb, -v80
	v_fma_f16 v52, v48, 0xb93d, -v52
	;; [unrolled: 1-line block ×4, first 2 shown]
	v_mul_f16_e32 v88, 0x3853, v62
	v_add_f16_e32 v78, v79, v78
	v_fmamk_f16 v79, v55, 0x36a6, v85
	v_fmac_f16_e32 v84, 0xbbad, v58
	v_add_f16_e32 v68, v80, v68
	v_fma_f16 v80, v53, 0xb93d, -v81
	v_add_f16_e32 v52, v39, v52
	v_fma_f16 v56, v50, 0xb08e, -v56
	v_add_f16_e32 v67, v86, v67
	v_add_f16_e32 v86, v38, v87
	v_fma_f16 v87, v61, 0x3abb, -v88
	v_mul_f16_e32 v89, 0xba0c, v65
	v_add_f16_e32 v78, v79, v78
	v_mul_f16_e32 v79, 0xbbeb, v69
	v_add_f16_e32 v84, v38, v84
	v_fmac_f16_e32 v88, 0x3abb, v61
	v_add_f16_e32 v68, v80, v68
	v_fma_f16 v80, v55, 0x36a6, -v85
	v_add_f16_e32 v52, v56, v52
	v_fma_f16 v56, v53, 0x3abb, -v60
	;; [unrolled: 2-line block ×3, first 2 shown]
	v_mul_f16_e32 v90, 0x3b47, v74
	v_fmamk_f16 v91, v75, 0xb08e, v79
	v_add_f16_e32 v84, v88, v84
	v_fmac_f16_e32 v89, 0xb93d, v71
	v_add_f16_e32 v68, v80, v68
	v_fma_f16 v79, v75, 0xb08e, -v79
	v_fmac_f16_e32 v64, 0xb93d, v58
	v_add_f16_e32 v52, v56, v52
	v_fma_f16 v56, v55, 0xbbad, -v63
	v_mul_f16_e32 v63, 0xb08e, v48
	v_add_f16_e32 v86, v87, v86
	v_fma_f16 v87, v76, 0x36a6, -v90
	v_add_f16_e32 v80, v89, v84
	v_fmac_f16_e32 v90, 0x36a6, v76
	v_add_f16_e32 v60, v79, v68
	v_add_f16_e32 v64, v38, v64
	v_fmac_f16_e32 v66, 0xb08e, v61
	v_add_f16_e32 v52, v56, v52
	v_fmamk_f16 v56, v47, 0x3beb, v63
	v_mul_f16_e32 v79, 0xbbad, v50
	v_add_f16_e32 v68, v90, v80
	v_add_f16_e32 v64, v66, v64
	v_fmac_f16_e32 v72, 0x3abb, v71
	v_fma_f16 v66, v75, 0x36a6, -v73
	v_add_f16_e32 v56, v39, v56
	v_fmamk_f16 v73, v49, 0xb482, v79
	v_mul_f16_e32 v80, 0x36a6, v53
	v_add_f16_e32 v81, v87, v86
	v_mul_f16_e32 v86, 0xbbeb, v70
	v_add_f16_e32 v64, v72, v64
	v_fmac_f16_e32 v77, 0xbbad, v76
	v_add_f16_e32 v52, v66, v52
	v_add_f16_e32 v56, v73, v56
	v_fmamk_f16 v66, v51, 0xbb47, v80
	v_mul_f16_e32 v72, 0x3abb, v55
	v_fma_f16 v85, v82, 0xb08e, -v86
	v_add_f16_e32 v64, v77, v64
	v_mul_f16_e32 v77, 0xb93d, v75
	v_add_f16_e32 v56, v66, v56
	v_fmamk_f16 v66, v54, 0x3853, v72
	v_add_f16_e32 v81, v85, v81
	v_mul_f16_e32 v85, 0x36a6, v48
	v_mul_f16_e32 v88, 0xb93d, v50
	v_add_f16_e32 v78, v91, v78
	v_add_f16_e32 v56, v66, v56
	v_fmamk_f16 v66, v69, 0x3a0c, v77
	v_mul_f16_e32 v91, 0xbbad, v53
	v_fmamk_f16 v90, v49, 0x3a0c, v88
	v_mul_f16_e32 v93, 0xb08e, v55
	v_mul_f16_e32 v95, 0x3abb, v75
	v_add_f16_e32 v56, v66, v56
	v_fmamk_f16 v66, v47, 0x3b47, v85
	v_mul_f16_e32 v48, 0x3abb, v48
	v_mul_f16_e32 v50, 0x36a6, v50
	;; [unrolled: 1-line block ×3, first 2 shown]
	v_add_f16_e32 v16, v16, v38
	v_add_f16_e32 v66, v39, v66
	v_mul_f16_e32 v55, 0xb93d, v55
	v_fmamk_f16 v100, v49, 0x3b47, v50
	v_mul_f16_e32 v73, 0xbbeb, v59
	v_add_f16_e32 v16, v17, v16
	v_add_f16_e32 v66, v90, v66
	v_fmamk_f16 v90, v51, 0xb482, v91
	v_add_f16_e32 v17, v46, v39
	v_mul_f16_e32 v94, 0xbb47, v59
	v_fmamk_f16 v46, v54, 0x3a0c, v55
	v_mul_f16_e32 v59, 0xb853, v59
	v_add_f16_e32 v66, v90, v66
	v_fmamk_f16 v90, v54, 0xbbeb, v93
	v_add_f16_e32 v14, v14, v16
	v_add_f16_e32 v16, v45, v17
	v_fmamk_f16 v45, v58, 0x3abb, v59
	v_fmac_f16_e32 v83, 0x36a6, v82
	v_add_f16_e32 v66, v90, v66
	v_fmamk_f16 v90, v69, 0xb853, v95
	v_add_f16_e32 v14, v15, v14
	v_add_f16_e32 v15, v44, v16
	;; [unrolled: 1-line block ×3, first 2 shown]
	v_fmac_f16_e32 v63, 0xbbeb, v47
	v_add_f16_e32 v66, v90, v66
	v_fmamk_f16 v90, v47, 0x3853, v48
	v_add_f16_e32 v12, v12, v14
	v_add_f16_e32 v14, v43, v15
	v_mul_f16_e32 v15, 0xbbeb, v65
	v_fmac_f16_e32 v86, 0xb08e, v82
	v_add_f16_e32 v90, v39, v90
	v_add_f16_e32 v12, v13, v12
	;; [unrolled: 1-line block ×3, first 2 shown]
	v_fmamk_f16 v14, v71, 0xb08e, v15
	v_mul_f16_e32 v42, 0xba0c, v74
	v_add_f16_e32 v90, v100, v90
	v_fmamk_f16 v100, v51, 0x3beb, v53
	v_add_f16_e32 v10, v10, v12
	v_add_f16_e32 v12, v41, v13
	v_mul_f16_e32 v41, 0xb482, v70
	v_add_f16_e32 v64, v83, v64
	v_add_f16_e32 v90, v100, v90
	v_add_f16_e32 v10, v11, v10
	v_add_f16_e32 v11, v40, v12
	v_fmamk_f16 v83, v58, 0xb08e, v73
	v_mul_f16_e32 v84, 0x3482, v62
	v_add_f16_e32 v17, v46, v90
	v_mul_f16_e32 v46, 0xbb47, v62
	v_add_f16_e32 v8, v8, v10
	v_add_f16_e32 v10, v36, v11
	;; [unrolled: 1-line block ×3, first 2 shown]
	v_fmac_f16_e32 v79, 0x3482, v49
	v_fmamk_f16 v45, v61, 0x36a6, v46
	v_add_f16_e32 v68, v86, v68
	v_add_f16_e32 v83, v38, v83
	v_fmamk_f16 v86, v61, 0xbbad, v84
	v_mul_f16_e32 v87, 0x3b47, v65
	v_add_f16_e32 v44, v45, v44
	v_add_f16_e32 v8, v9, v8
	;; [unrolled: 1-line block ×4, first 2 shown]
	v_fmac_f16_e32 v85, 0xbb47, v47
	v_add_f16_e32 v13, v14, v44
	v_fmamk_f16 v14, v76, 0xb93d, v42
	v_add_f16_e32 v83, v86, v83
	v_fmamk_f16 v86, v71, 0x36a6, v87
	v_mul_f16_e32 v89, 0xb853, v74
	v_fmac_f16_e32 v88, 0xba0c, v49
	v_add_f16_e32 v12, v14, v13
	v_fmamk_f16 v13, v82, 0xbbad, v41
	v_add_f16_e32 v14, v39, v85
	v_add_f16_e32 v83, v86, v83
	v_fmamk_f16 v86, v76, 0x3abb, v89
	v_mul_f16_e32 v92, 0xba0c, v70
	v_add_f16_e32 v12, v13, v12
	v_fma_f16 v13, v58, 0xb08e, -v73
	v_add_f16_e32 v14, v88, v14
	v_fmac_f16_e32 v91, 0x3482, v51
	v_add_f16_e32 v83, v86, v83
	v_fmamk_f16 v86, v82, 0xb93d, v92
	v_add_f16_e32 v11, v38, v13
	v_fma_f16 v13, v61, 0xbbad, -v84
	v_mul_f16_e32 v96, 0xba0c, v62
	v_fma_f16 v34, v58, 0x36a6, -v94
	v_add_f16_e32 v14, v91, v14
	v_fmac_f16_e32 v93, 0x3beb, v54
	v_add_f16_e32 v11, v13, v11
	v_fma_f16 v13, v71, 0x36a6, -v87
	v_add_f16_e32 v83, v86, v83
	v_fmamk_f16 v86, v58, 0x36a6, v94
	v_mul_f16_e32 v98, 0x3482, v65
	v_add_f16_e32 v9, v35, v9
	v_add_f16_e32 v11, v13, v11
	v_fma_f16 v13, v76, 0x3abb, -v89
	v_add_f16_e32 v34, v38, v34
	v_fma_f16 v35, v61, 0xb93d, -v96
	v_fmac_f16_e32 v48, 0xb853, v47
	v_add_f16_e32 v86, v38, v86
	v_add_f16_e32 v11, v13, v11
	v_fma_f16 v13, v82, 0xb93d, -v92
	v_fmamk_f16 v97, v61, 0xb93d, v96
	v_mul_f16_e32 v99, 0x3beb, v74
	v_add_f16_e32 v34, v35, v34
	v_fma_f16 v35, v71, 0xbbad, -v98
	v_add_f16_e32 v11, v13, v11
	v_add_f16_e32 v13, v93, v14
	v_fma_f16 v14, v58, 0x3abb, -v59
	v_add_f16_e32 v36, v39, v48
	v_fmac_f16_e32 v50, 0xbb47, v49
	v_add_f16_e32 v86, v97, v86
	v_fmamk_f16 v97, v71, 0xbbad, v98
	v_add_f16_e32 v14, v38, v14
	v_fma_f16 v38, v61, 0x36a6, -v46
	v_mul_f16_e32 v16, 0xbbad, v75
	v_fmac_f16_e32 v80, 0x3b47, v51
	v_add_f16_e32 v34, v35, v34
	v_fma_f16 v35, v76, 0xb08e, -v99
	v_add_f16_e32 v36, v50, v36
	v_fmac_f16_e32 v53, 0xbbeb, v51
	v_add_f16_e32 v14, v38, v14
	v_fma_f16 v15, v71, 0xb08e, -v15
	v_add_f16_e32 v86, v97, v86
	v_fmamk_f16 v97, v76, 0xb08e, v99
	v_mul_f16_e32 v101, 0x3853, v70
	v_fmamk_f16 v43, v69, 0x3482, v16
	v_add_f16_e32 v10, v80, v10
	v_fmac_f16_e32 v72, 0xb853, v54
	v_add_f16_e32 v34, v35, v34
	v_add_f16_e32 v35, v53, v36
	v_fmac_f16_e32 v55, 0xba0c, v54
	v_add_f16_e32 v14, v15, v14
	v_fma_f16 v15, v76, 0xb93d, -v42
	v_add_f16_e32 v86, v97, v86
	v_fmamk_f16 v97, v82, 0x3abb, v101
	v_add_f16_e32 v17, v43, v17
	v_and_b32_e32 v33, 0xffff, v33
	v_add_f16_e32 v10, v72, v10
	v_fmac_f16_e32 v77, 0xba0c, v69
	v_fmac_f16_e32 v95, 0x3853, v69
	v_fma_f16 v36, v82, 0x3abb, -v101
	v_add_f16_e32 v35, v55, v35
	v_fmac_f16_e32 v16, 0xb482, v69
	v_add_f16_e32 v14, v15, v14
	v_fma_f16 v15, v82, 0xbbad, -v41
	v_add_f16_e32 v86, v97, v86
	v_lshl_add_u32 v32, v33, 2, v32
	v_pack_b32_f16 v12, v12, v17
	v_pack_b32_f16 v8, v8, v9
	v_add_f16_e32 v10, v77, v10
	v_add_f16_e32 v9, v95, v13
	;; [unrolled: 1-line block ×5, first 2 shown]
	ds_write2_b32 v32, v8, v12 offset1:1
	v_pack_b32_f16 v8, v83, v56
	v_pack_b32_f16 v12, v86, v66
	;; [unrolled: 1-line block ×9, first 2 shown]
	ds_write2_b32 v32, v12, v8 offset0:2 offset1:3
	ds_write2_b32 v32, v17, v15 offset0:4 offset1:5
	ds_write2_b32 v32, v34, v33 offset0:6 offset1:7
	ds_write2_b32 v32, v10, v9 offset0:8 offset1:9
	ds_write_b32 v32, v11 offset:40
.LBB0_13:
	s_or_b32 exec_lo, exec_lo, s0
	s_waitcnt lgkmcnt(0)
	s_barrier
	buffer_gl0_inv
	ds_read2_b32 v[8:9], v37 offset1:11
	ds_read2_b32 v[10:11], v37 offset0:22 offset1:33
	ds_read2_b32 v[12:13], v37 offset0:44 offset1:55
	;; [unrolled: 1-line block ×3, first 2 shown]
	s_waitcnt lgkmcnt(3)
	v_lshrrev_b32_e32 v17, 16, v9
	s_waitcnt lgkmcnt(2)
	v_lshrrev_b32_e32 v32, 16, v10
	v_lshrrev_b32_e32 v33, 16, v11
	s_waitcnt lgkmcnt(1)
	v_lshrrev_b32_e32 v34, 16, v12
	v_mul_f16_sdwa v38, v0, v9 dst_sel:DWORD dst_unused:UNUSED_PAD src0_sel:WORD_1 src1_sel:DWORD
	v_mul_f16_sdwa v39, v1, v10 dst_sel:DWORD dst_unused:UNUSED_PAD src0_sel:WORD_1 src1_sel:DWORD
	;; [unrolled: 1-line block ×3, first 2 shown]
	v_lshrrev_b32_e32 v35, 16, v13
	s_waitcnt lgkmcnt(0)
	v_lshrrev_b32_e32 v36, 16, v14
	v_mul_f16_sdwa v41, v3, v12 dst_sel:DWORD dst_unused:UNUSED_PAD src0_sel:WORD_1 src1_sel:DWORD
	v_mul_f16_sdwa v43, v0, v17 dst_sel:DWORD dst_unused:UNUSED_PAD src0_sel:WORD_1 src1_sel:DWORD
	v_fma_f16 v17, v0, v17, -v38
	v_mul_f16_sdwa v38, v1, v32 dst_sel:DWORD dst_unused:UNUSED_PAD src0_sel:WORD_1 src1_sel:DWORD
	v_fma_f16 v32, v1, v32, -v39
	;; [unrolled: 2-line block ×3, first 2 shown]
	v_mul_f16_sdwa v40, v3, v34 dst_sel:DWORD dst_unused:UNUSED_PAD src0_sel:WORD_1 src1_sel:DWORD
	v_lshrrev_b32_e32 v37, 16, v15
	v_mul_f16_sdwa v42, v4, v13 dst_sel:DWORD dst_unused:UNUSED_PAD src0_sel:WORD_1 src1_sel:DWORD
	v_mul_f16_sdwa v44, v4, v35 dst_sel:DWORD dst_unused:UNUSED_PAD src0_sel:WORD_1 src1_sel:DWORD
	v_fmac_f16_e32 v43, v0, v9
	v_fmac_f16_e32 v38, v1, v10
	;; [unrolled: 1-line block ×3, first 2 shown]
	v_fma_f16 v0, v3, v34, -v41
	v_mul_f16_sdwa v1, v5, v36 dst_sel:DWORD dst_unused:UNUSED_PAD src0_sel:WORD_1 src1_sel:DWORD
	v_mul_f16_sdwa v3, v5, v14 dst_sel:DWORD dst_unused:UNUSED_PAD src0_sel:WORD_1 src1_sel:DWORD
	;; [unrolled: 1-line block ×3, first 2 shown]
	v_lshrrev_b32_e32 v16, 16, v8
	v_fmac_f16_e32 v39, v2, v11
	v_fmac_f16_e32 v44, v4, v13
	v_fma_f16 v2, v4, v35, -v42
	v_mul_f16_sdwa v4, v6, v37 dst_sel:DWORD dst_unused:UNUSED_PAD src0_sel:WORD_1 src1_sel:DWORD
	v_fmac_f16_e32 v1, v5, v14
	v_fma_f16 v3, v5, v36, -v3
	v_fma_f16 v5, v6, v37, -v9
	v_sub_f16_e32 v10, v8, v40
	v_fmac_f16_e32 v4, v6, v15
	v_sub_f16_e32 v0, v16, v0
	v_sub_f16_e32 v3, v32, v3
	;; [unrolled: 1-line block ×4, first 2 shown]
	v_fma_f16 v6, v8, 2.0, -v10
	v_sub_f16_e32 v1, v38, v1
	v_sub_f16_e32 v8, v43, v44
	v_fma_f16 v9, v16, 2.0, -v0
	v_fma_f16 v12, v32, 2.0, -v3
	v_sub_f16_e32 v4, v39, v4
	v_fma_f16 v14, v17, 2.0, -v2
	v_fma_f16 v16, v33, 2.0, -v5
	v_fma_f16 v11, v38, 2.0, -v1
	v_sub_f16_e32 v12, v9, v12
	v_fma_f16 v15, v39, 2.0, -v4
	v_add_f16_e32 v3, v10, v3
	v_sub_f16_e32 v1, v0, v1
	v_add_f16_e32 v5, v8, v5
	v_sub_f16_e32 v16, v14, v16
	v_sub_f16_e32 v4, v2, v4
	v_fma_f16 v13, v43, 2.0, -v8
	v_fma_f16 v9, v9, 2.0, -v12
	;; [unrolled: 1-line block ×7, first 2 shown]
	v_sub_f16_e32 v11, v6, v11
	v_sub_f16_e32 v15, v13, v15
	v_fmamk_f16 v17, v8, 0xb9a8, v10
	v_sub_f16_e32 v14, v9, v14
	v_fmamk_f16 v32, v2, 0xb9a8, v0
	v_fma_f16 v6, v6, 2.0, -v11
	v_fma_f16 v13, v13, 2.0, -v15
	v_fmac_f16_e32 v17, 0x39a8, v2
	v_fma_f16 v2, v9, 2.0, -v14
	v_fmac_f16_e32 v32, 0xb9a8, v8
	v_fmamk_f16 v8, v5, 0x39a8, v3
	v_fmamk_f16 v9, v4, 0x39a8, v1
	v_sub_f16_e32 v13, v6, v13
	v_add_f16_e32 v16, v11, v16
	v_sub_f16_e32 v15, v12, v15
	v_fmac_f16_e32 v8, 0x39a8, v4
	v_fmac_f16_e32 v9, 0xb9a8, v5
	v_fma_f16 v6, v6, 2.0, -v13
	v_fma_f16 v10, v10, 2.0, -v17
	;; [unrolled: 1-line block ×7, first 2 shown]
	v_pack_b32_f16 v2, v6, v2
	v_pack_b32_f16 v0, v10, v0
	v_pack_b32_f16 v4, v4, v5
	v_pack_b32_f16 v5, v17, v32
	v_pack_b32_f16 v1, v3, v1
	v_pack_b32_f16 v3, v13, v14
	v_pack_b32_f16 v6, v16, v15
	v_pack_b32_f16 v8, v8, v9
	ds_write2_b32 v30, v2, v0 offset1:11
	ds_write2_b32 v30, v4, v1 offset0:22 offset1:33
	ds_write2_b32 v30, v3, v5 offset0:44 offset1:55
	;; [unrolled: 1-line block ×3, first 2 shown]
	s_waitcnt lgkmcnt(0)
	s_barrier
	buffer_gl0_inv
	s_and_b32 exec_lo, exec_lo, vcc_lo
	s_cbranch_execz .LBB0_15
; %bb.14:
	s_clause 0x5
	global_load_dword v4, v24, s[24:25]
	global_load_dword v5, v24, s[24:25] offset:32
	global_load_dword v12, v24, s[24:25] offset:64
	;; [unrolled: 1-line block ×5, first 2 shown]
	v_mad_u64_u32 v[15:16], null, s22, v7, 0
	ds_read_b32 v43, v31
	v_mad_u64_u32 v[31:32], null, s20, v26, 0
	v_mad_u64_u32 v[35:36], null, s20, v27, 0
	ds_read2_b32 v[33:34], v30 offset0:8 offset1:16
	v_mad_u64_u32 v[37:38], null, s20, v28, 0
	v_mov_b32_e32 v6, v16
	v_mov_b32_e32 v16, v32
	ds_read2_b32 v[39:40], v30 offset0:24 offset1:32
	v_mov_b32_e32 v17, v36
	v_mad_u64_u32 v[2:3], null, s20, v29, 0
	v_mad_u64_u32 v[6:7], null, s23, v7, v[6:7]
	;; [unrolled: 1-line block ×3, first 2 shown]
	v_mov_b32_e32 v32, v38
	v_mad_u64_u32 v[26:27], null, s21, v27, v[17:18]
	ds_read2_b32 v[0:1], v30 offset0:40 offset1:48
	s_waitcnt lgkmcnt(3)
	v_lshrrev_b32_e32 v17, 16, v43
	v_mov_b32_e32 v16, v6
	s_mov_b32 s26, 0x745d1746
	s_waitcnt lgkmcnt(2)
	v_mad_u64_u32 v[27:28], null, s21, v28, v[32:33]
	v_mov_b32_e32 v32, v41
	v_lshrrev_b32_e32 v42, 16, v33
	v_mov_b32_e32 v36, v26
	v_lshlrev_b64 v[6:7], 2, v[15:16]
	v_lshrrev_b32_e32 v44, 16, v34
	v_lshlrev_b64 v[15:16], 2, v[31:32]
	v_mov_b32_e32 v38, v27
	v_lshlrev_b64 v[26:27], 2, v[35:36]
	s_waitcnt lgkmcnt(1)
	v_lshrrev_b32_e32 v45, 16, v39
	v_lshrrev_b32_e32 v46, 16, v40
	s_mov_b32 s27, 0x3f8745d1
	v_add_co_u32 v6, vcc_lo, s6, v6
	v_add_co_ci_u32_e32 v7, vcc_lo, s7, v7, vcc_lo
	s_waitcnt lgkmcnt(0)
	v_lshrrev_b32_e32 v52, 16, v0
	v_add_co_u32 v15, vcc_lo, v6, v15
	v_add_co_ci_u32_e32 v16, vcc_lo, v7, v16, vcc_lo
	v_add_co_u32 v26, vcc_lo, v6, v26
	v_add_co_ci_u32_e32 v27, vcc_lo, v7, v27, vcc_lo
	s_clause 0x3
	global_load_dword v11, v24, s[24:25] offset:192
	global_load_dword v8, v24, s[24:25] offset:224
	;; [unrolled: 1-line block ×4, first 2 shown]
	s_waitcnt vmcnt(9)
	v_mul_f16_sdwa v31, v17, v4 dst_sel:DWORD dst_unused:UNUSED_PAD src0_sel:DWORD src1_sel:WORD_1
	v_mad_u64_u32 v[28:29], null, s21, v29, v[3:4]
	v_mul_f16_sdwa v32, v43, v4 dst_sel:DWORD dst_unused:UNUSED_PAD src0_sel:DWORD src1_sel:WORD_1
	s_waitcnt vmcnt(8)
	v_mul_f16_sdwa v35, v42, v5 dst_sel:DWORD dst_unused:UNUSED_PAD src0_sel:DWORD src1_sel:WORD_1
	v_mul_f16_sdwa v36, v33, v5 dst_sel:DWORD dst_unused:UNUSED_PAD src0_sel:DWORD src1_sel:WORD_1
	v_fmac_f16_e32 v31, v43, v4
	s_waitcnt vmcnt(6)
	v_mul_f16_sdwa v41, v45, v13 dst_sel:DWORD dst_unused:UNUSED_PAD src0_sel:DWORD src1_sel:WORD_1
	v_fma_f16 v4, v4, v17, -v32
	v_mov_b32_e32 v3, v28
	v_lshlrev_b64 v[28:29], 2, v[37:38]
	v_mul_f16_sdwa v37, v44, v12 dst_sel:DWORD dst_unused:UNUSED_PAD src0_sel:DWORD src1_sel:WORD_1
	v_mul_f16_sdwa v38, v34, v12 dst_sel:DWORD dst_unused:UNUSED_PAD src0_sel:DWORD src1_sel:WORD_1
	v_fmac_f16_e32 v35, v33, v5
	v_fma_f16 v17, v5, v42, -v36
	v_cvt_f32_f16_e32 v5, v31
	v_mul_f16_sdwa v47, v39, v13 dst_sel:DWORD dst_unused:UNUSED_PAD src0_sel:DWORD src1_sel:WORD_1
	v_fmac_f16_e32 v37, v34, v12
	v_fma_f16 v32, v12, v44, -v38
	v_cvt_f32_f16_e32 v12, v4
	v_cvt_f64_f32_e32 v[4:5], v5
	s_waitcnt vmcnt(4)
	v_mul_f16_sdwa v50, v52, v51 dst_sel:DWORD dst_unused:UNUSED_PAD src0_sel:DWORD src1_sel:WORD_1
	v_fmac_f16_e32 v41, v39, v13
	v_fma_f16 v36, v13, v45, -v47
	v_cvt_f64_f32_e32 v[12:13], v12
	v_cvt_f32_f16_e32 v31, v35
	v_mul_f16_sdwa v53, v0, v51 dst_sel:DWORD dst_unused:UNUSED_PAD src0_sel:DWORD src1_sel:WORD_1
	v_cvt_f32_f16_e32 v17, v17
	v_fmac_f16_e32 v50, v0, v51
	v_cvt_f32_f16_e32 v0, v37
	v_cvt_f32_f16_e32 v37, v32
	v_cvt_f64_f32_e32 v[31:32], v31
	v_cvt_f64_f32_e32 v[33:34], v17
	v_mul_f16_sdwa v48, v46, v14 dst_sel:DWORD dst_unused:UNUSED_PAD src0_sel:DWORD src1_sel:WORD_1
	v_mul_f16_sdwa v49, v40, v14 dst_sel:DWORD dst_unused:UNUSED_PAD src0_sel:DWORD src1_sel:WORD_1
	v_cvt_f32_f16_e32 v17, v41
	v_cvt_f32_f16_e32 v41, v36
	v_cvt_f64_f32_e32 v[35:36], v0
	v_fmac_f16_e32 v48, v40, v14
	v_fma_f16 v14, v14, v46, -v49
	v_cvt_f32_f16_e32 v47, v50
	v_cvt_f64_f32_e32 v[37:38], v37
	v_mul_f64 v[49:50], v[4:5], s[26:27]
	v_cvt_f64_f32_e32 v[39:40], v17
	v_fma_f16 v0, v51, v52, -v53
	v_cvt_f32_f16_e32 v43, v48
	v_mul_f64 v[12:13], v[12:13], s[26:27]
	v_cvt_f64_f32_e32 v[41:42], v41
	v_cvt_f32_f16_e32 v14, v14
	v_cvt_f32_f16_e32 v0, v0
	v_cvt_f64_f32_e32 v[43:44], v43
	v_add_co_u32 v28, vcc_lo, v6, v28
	v_mul_f64 v[31:32], v[31:32], s[26:27]
	v_mul_f64 v[33:34], v[33:34], s[26:27]
	v_cvt_f64_f32_e32 v[51:52], v0
	v_cvt_f64_f32_e32 v[45:46], v14
	v_add_co_ci_u32_e32 v29, vcc_lo, v7, v29, vcc_lo
	v_mul_f64 v[35:36], v[35:36], s[26:27]
	v_cvt_f64_f32_e32 v[47:48], v47
	v_lshlrev_b64 v[2:3], 2, v[2:3]
	v_mul_f64 v[37:38], v[37:38], s[26:27]
	v_and_or_b32 v0, 0x1ff, v50, v49
	v_mul_f64 v[39:40], v[39:40], s[26:27]
	v_lshrrev_b32_e32 v14, 8, v50
	v_bfe_u32 v17, v50, 20, 11
	v_and_or_b32 v12, 0x1ff, v13, v12
	v_cmp_ne_u32_e32 vcc_lo, 0, v0
	v_mul_f64 v[41:42], v[41:42], s[26:27]
	v_bfe_u32 v49, v13, 20, 11
	v_mul_f64 v[43:44], v[43:44], s[26:27]
	v_sub_nc_u32_e32 v68, 0x3f1, v17
	v_cndmask_b32_e64 v0, 0, 1, vcc_lo
	v_and_or_b32 v31, 0x1ff, v32, v31
	v_cmp_ne_u32_e32 vcc_lo, 0, v12
	v_and_or_b32 v33, 0x1ff, v34, v33
	v_mul_f64 v[45:46], v[45:46], s[26:27]
	v_and_or_b32 v0, 0xffe, v14, v0
	v_bfe_u32 v53, v32, 20, 11
	v_cndmask_b32_e64 v12, 0, 1, vcc_lo
	v_cmp_ne_u32_e32 vcc_lo, 0, v31
	v_and_or_b32 v35, 0x1ff, v36, v35
	v_mul_f64 v[4:5], v[47:48], s[26:27]
	v_and_or_b32 v37, 0x1ff, v38, v37
	v_lshrrev_b32_e32 v48, 8, v13
	v_cndmask_b32_e64 v31, 0, 1, vcc_lo
	v_cmp_ne_u32_e32 vcc_lo, 0, v33
	v_and_or_b32 v39, 0x1ff, v40, v39
	v_lshrrev_b32_e32 v47, 16, v50
	v_lshrrev_b32_e32 v50, 8, v32
	v_and_or_b32 v41, 0x1ff, v42, v41
	v_cndmask_b32_e64 v33, 0, 1, vcc_lo
	v_cmp_ne_u32_e32 vcc_lo, 0, v35
	v_and_or_b32 v43, 0x1ff, v44, v43
	v_bfe_u32 v55, v34, 20, 11
	v_add_nc_u32_e32 v17, 0xfffffc10, v17
	v_sub_nc_u32_e32 v69, 0x3f1, v49
	v_cndmask_b32_e64 v35, 0, 1, vcc_lo
	v_cmp_ne_u32_e32 vcc_lo, 0, v37
	v_and_or_b32 v45, 0x1ff, v46, v45
	v_and_or_b32 v12, 0xffe, v48, v12
	v_lshrrev_b32_e32 v54, 8, v34
	v_bfe_u32 v57, v36, 20, 11
	v_cndmask_b32_e64 v37, 0, 1, vcc_lo
	v_cmp_ne_u32_e32 vcc_lo, 0, v39
	v_bfe_u32 v59, v38, 20, 11
	v_add_nc_u32_e32 v49, 0xfffffc10, v49
	v_sub_nc_u32_e32 v70, 0x3f1, v53
	v_sub_nc_u32_e32 v71, 0x3f1, v55
	v_cndmask_b32_e64 v39, 0, 1, vcc_lo
	v_cmp_ne_u32_e32 vcc_lo, 0, v41
	v_med3_i32 v14, v68, 0, 13
	v_med3_i32 v48, v69, 0, 13
	v_and_or_b32 v31, 0xffe, v50, v31
	v_or_b32_e32 v68, 0x1000, v0
	v_cndmask_b32_e64 v41, 0, 1, vcc_lo
	v_cmp_ne_u32_e32 vcc_lo, 0, v43
	v_lshl_or_b32 v69, v17, 12, v0
	v_lshrrev_b32_e32 v56, 8, v36
	v_lshrrev_b32_e32 v58, 8, v38
	v_bfe_u32 v61, v40, 20, 11
	v_cndmask_b32_e64 v43, 0, 1, vcc_lo
	v_cmp_ne_u32_e32 vcc_lo, 0, v45
	v_bfe_u32 v63, v42, 20, 11
	v_add_nc_u32_e32 v53, 0xfffffc10, v53
	v_sub_nc_u32_e32 v72, 0x3f1, v57
	v_sub_nc_u32_e32 v73, 0x3f1, v59
	v_cndmask_b32_e64 v45, 0, 1, vcc_lo
	v_cmp_ne_u32_e32 vcc_lo, 0, v0
	v_med3_i32 v50, v70, 0, 13
	v_and_or_b32 v33, 0xffe, v54, v33
	v_med3_i32 v54, v71, 0, 13
	v_or_b32_e32 v70, 0x1000, v12
	v_cndmask_b32_e64 v0, 0, 1, vcc_lo
	v_cmp_ne_u32_e32 vcc_lo, 0, v12
	v_lshl_or_b32 v71, v49, 12, v12
	v_lshrrev_b32_e32 v60, 8, v40
	v_lshrrev_b32_e32 v62, 8, v42
	v_bfe_u32 v65, v44, 20, 11
	v_cndmask_b32_e64 v12, 0, 1, vcc_lo
	v_cmp_ne_u32_e32 vcc_lo, 0, v31
	v_bfe_u32 v67, v46, 20, 11
	v_add_nc_u32_e32 v55, 0xfffffc10, v55
	v_sub_nc_u32_e32 v74, 0x3f1, v61
	v_sub_nc_u32_e32 v75, 0x3f1, v63
	v_and_or_b32 v35, 0xffe, v56, v35
	v_med3_i32 v56, v72, 0, 13
	v_and_or_b32 v37, 0xffe, v58, v37
	v_med3_i32 v58, v73, 0, 13
	v_or_b32_e32 v72, 0x1000, v31
	v_lshl_or_b32 v73, v53, 12, v31
	v_cndmask_b32_e64 v31, 0, 1, vcc_lo
	v_cmp_ne_u32_e32 vcc_lo, 0, v33
	v_lshrrev_b32_e32 v64, 8, v44
	v_lshrrev_b32_e32 v66, 8, v46
	v_add_nc_u32_e32 v57, 0xfffffc10, v57
	v_sub_nc_u32_e32 v76, 0x3f1, v65
	v_sub_nc_u32_e32 v77, 0x3f1, v67
	v_and_or_b32 v39, 0xffe, v60, v39
	v_med3_i32 v60, v74, 0, 13
	v_and_or_b32 v41, 0xffe, v62, v41
	v_med3_i32 v62, v75, 0, 13
	v_or_b32_e32 v74, 0x1000, v33
	v_lshl_or_b32 v75, v55, 12, v33
	v_cndmask_b32_e64 v33, 0, 1, vcc_lo
	v_cmp_ne_u32_e32 vcc_lo, 0, v35
	v_add_nc_u32_e32 v59, 0xfffffc10, v59
	v_and_or_b32 v43, 0xffe, v64, v43
	v_med3_i32 v64, v76, 0, 13
	v_and_or_b32 v45, 0xffe, v66, v45
	v_med3_i32 v66, v77, 0, 13
	v_or_b32_e32 v76, 0x1000, v35
	v_lshl_or_b32 v77, v57, 12, v35
	v_cndmask_b32_e64 v35, 0, 1, vcc_lo
	v_cmp_ne_u32_e32 vcc_lo, 0, v37
	v_add_nc_u32_e32 v61, 0xfffffc10, v61
	v_or_b32_e32 v78, 0x1000, v37
	v_lshl_or_b32 v79, v59, 12, v37
	v_add_nc_u32_e32 v63, 0xfffffc10, v63
	v_cndmask_b32_e64 v37, 0, 1, vcc_lo
	v_cmp_ne_u32_e32 vcc_lo, 0, v39
	v_or_b32_e32 v80, 0x1000, v39
	v_lshl_or_b32 v81, v61, 12, v39
	v_lshrrev_b32_e32 v88, v14, v68
	v_add_nc_u32_e32 v65, 0xfffffc10, v65
	v_cndmask_b32_e64 v39, 0, 1, vcc_lo
	v_cmp_ne_u32_e32 vcc_lo, 0, v41
	v_or_b32_e32 v82, 0x1000, v41
	v_lshl_or_b32 v83, v63, 12, v41
	v_lshrrev_b32_e32 v89, v48, v70
	v_lshlrev_b32_e32 v14, v14, v88
	v_cndmask_b32_e64 v41, 0, 1, vcc_lo
	v_cmp_ne_u32_e32 vcc_lo, 0, v43
	v_or_b32_e32 v84, 0x1000, v43
	v_lshl_or_b32 v85, v65, 12, v43
	v_lshrrev_b32_e32 v90, v50, v72
	v_lshlrev_b32_e32 v48, v48, v89
	v_cndmask_b32_e64 v43, 0, 1, vcc_lo
	v_cmp_ne_u32_e32 vcc_lo, v14, v68
	v_lshrrev_b32_e32 v91, v54, v74
	v_lshlrev_b32_e32 v50, v50, v90
	v_lshrrev_b32_e32 v92, v56, v76
	v_lshrrev_b32_e32 v93, v58, v78
	v_cndmask_b32_e64 v14, 0, 1, vcc_lo
	v_cmp_ne_u32_e32 vcc_lo, v48, v70
	v_lshlrev_b32_e32 v54, v54, v91
	v_lshlrev_b32_e32 v56, v56, v92
	v_lshrrev_b32_e32 v94, v60, v80
	v_lshlrev_b32_e32 v58, v58, v93
	v_cndmask_b32_e64 v48, 0, 1, vcc_lo
	v_cmp_ne_u32_e32 vcc_lo, v50, v72
	v_lshrrev_b32_e32 v95, v62, v82
	v_lshlrev_b32_e32 v60, v60, v94
	v_or_b32_e32 v86, 0x1000, v45
	v_lshrrev_b32_e32 v96, v64, v84
	v_cndmask_b32_e64 v50, 0, 1, vcc_lo
	v_cmp_ne_u32_e32 vcc_lo, v54, v74
	v_lshlrev_b32_e32 v62, v62, v95
	v_lshrrev_b32_e32 v97, v66, v86
	v_lshlrev_b32_e32 v64, v64, v96
	v_or_b32_e32 v14, v88, v14
	v_cndmask_b32_e64 v54, 0, 1, vcc_lo
	v_cmp_ne_u32_e32 vcc_lo, v56, v76
	v_lshlrev_b32_e32 v66, v66, v97
	v_or_b32_e32 v48, v89, v48
	v_or_b32_e32 v50, v90, v50
	;; [unrolled: 1-line block ×3, first 2 shown]
	v_cndmask_b32_e64 v56, 0, 1, vcc_lo
	v_cmp_ne_u32_e32 vcc_lo, v58, v78
	v_add_nc_u32_e32 v67, 0xfffffc10, v67
	v_lshl_or_b32 v0, v0, 9, 0x7c00
	v_lshl_or_b32 v12, v12, 9, 0x7c00
	v_or_b32_e32 v56, v92, v56
	v_cndmask_b32_e64 v58, 0, 1, vcc_lo
	v_cmp_ne_u32_e32 vcc_lo, v60, v80
	v_lshl_or_b32 v87, v67, 12, v45
	v_lshl_or_b32 v31, v31, 9, 0x7c00
	;; [unrolled: 1-line block ×3, first 2 shown]
	v_or_b32_e32 v58, v93, v58
	v_cndmask_b32_e64 v60, 0, 1, vcc_lo
	v_cmp_ne_u32_e32 vcc_lo, v62, v82
	v_lshl_or_b32 v35, v35, 9, 0x7c00
	v_lshl_or_b32 v37, v37, 9, 0x7c00
	v_lshrrev_b32_e32 v13, 16, v13
	v_or_b32_e32 v60, v94, v60
	v_cndmask_b32_e64 v62, 0, 1, vcc_lo
	v_cmp_ne_u32_e32 vcc_lo, v64, v84
	v_lshrrev_b32_e32 v32, 16, v32
	v_lshrrev_b32_e32 v34, 16, v34
	;; [unrolled: 1-line block ×3, first 2 shown]
	v_or_b32_e32 v62, v95, v62
	v_cndmask_b32_e64 v64, 0, 1, vcc_lo
	v_cmp_ne_u32_e32 vcc_lo, v66, v86
	v_lshl_or_b32 v39, v39, 9, 0x7c00
	v_lshrrev_b32_e32 v38, 16, v38
	v_lshl_or_b32 v41, v41, 9, 0x7c00
	v_or_b32_e32 v64, v96, v64
	v_cndmask_b32_e64 v66, 0, 1, vcc_lo
	v_cmp_gt_i32_e32 vcc_lo, 1, v17
	v_lshl_or_b32 v43, v43, 9, 0x7c00
	v_and_or_b32 v4, 0x1ff, v5, v4
	v_lshrrev_b32_e32 v40, 16, v40
	v_or_b32_e32 v66, v97, v66
	v_cndmask_b32_e32 v14, v69, v14, vcc_lo
	v_cmp_gt_i32_e32 vcc_lo, 1, v49
	v_lshrrev_b32_e32 v42, 16, v42
	v_and_b32_e32 v68, 7, v14
	v_cndmask_b32_e32 v48, v71, v48, vcc_lo
	v_cmp_gt_i32_e32 vcc_lo, 1, v53
	v_lshrrev_b32_e32 v14, 2, v14
	v_cmp_eq_u32_e64 s0, 3, v68
	v_and_b32_e32 v69, 7, v48
	v_cndmask_b32_e32 v50, v73, v50, vcc_lo
	v_cmp_gt_i32_e32 vcc_lo, 1, v55
	v_lshrrev_b32_e32 v48, 2, v48
	v_cmp_lt_i32_e64 s1, 5, v69
	v_and_b32_e32 v70, 7, v50
	v_cndmask_b32_e32 v54, v75, v54, vcc_lo
	v_cmp_gt_i32_e32 vcc_lo, 1, v57
	v_cmp_eq_u32_e64 s2, 3, v69
	v_lshrrev_b32_e32 v50, 2, v50
	v_cmp_lt_i32_e64 s3, 5, v70
	v_and_b32_e32 v71, 7, v54
	v_cndmask_b32_e32 v56, v77, v56, vcc_lo
	v_cmp_gt_i32_e32 vcc_lo, 1, v59
	v_cmp_eq_u32_e64 s4, 3, v70
	;; [unrolled: 6-line block ×6, first 2 shown]
	v_lshrrev_b32_e32 v62, 2, v62
	v_cmp_lt_i32_e64 s13, 5, v75
	v_and_b32_e32 v76, 7, v64
	v_cndmask_b32_e32 v66, v87, v66, vcc_lo
	v_cmp_lt_i32_e32 vcc_lo, 5, v68
	v_cmp_eq_u32_e64 s14, 3, v75
	v_lshrrev_b32_e32 v64, 2, v64
	v_cmp_lt_i32_e64 s15, 5, v76
	v_cmp_eq_u32_e64 s16, 3, v76
	s_or_b32 vcc_lo, s0, vcc_lo
	v_and_b32_e32 v77, 7, v66
	v_add_co_ci_u32_e32 v14, vcc_lo, 0, v14, vcc_lo
	s_or_b32 vcc_lo, s2, s1
	v_add_co_ci_u32_e32 v48, vcc_lo, 0, v48, vcc_lo
	s_or_b32 vcc_lo, s4, s3
	v_cmp_lt_i32_e64 s17, 5, v77
	v_add_co_ci_u32_e32 v50, vcc_lo, 0, v50, vcc_lo
	s_or_b32 vcc_lo, s6, s5
	v_cmp_eq_u32_e64 s18, 3, v77
	v_add_co_ci_u32_e32 v54, vcc_lo, 0, v54, vcc_lo
	s_or_b32 vcc_lo, s8, s7
	v_add_co_ci_u32_e32 v56, vcc_lo, 0, v56, vcc_lo
	s_or_b32 vcc_lo, s10, s9
	;; [unrolled: 2-line block ×5, first 2 shown]
	v_add_co_ci_u32_e32 v64, vcc_lo, 0, v64, vcc_lo
	v_cmp_gt_i32_e32 vcc_lo, 31, v17
	v_cndmask_b32_e32 v14, 0x7c00, v14, vcc_lo
	v_cmp_gt_i32_e32 vcc_lo, 31, v49
	v_cndmask_b32_e32 v48, 0x7c00, v48, vcc_lo
	;; [unrolled: 2-line block ×8, first 2 shown]
	v_cmp_eq_u32_e32 vcc_lo, 0x40f, v17
	v_cndmask_b32_e32 v0, v14, v0, vcc_lo
	v_cmp_eq_u32_e32 vcc_lo, 0x40f, v49
	v_and_or_b32 v0, 0x8000, v47, v0
	v_cndmask_b32_e32 v12, v48, v12, vcc_lo
	v_cmp_eq_u32_e32 vcc_lo, 0x40f, v53
	v_and_b32_e32 v0, 0xffff, v0
	v_and_or_b32 v12, 0x8000, v13, v12
	v_cndmask_b32_e32 v14, v50, v31, vcc_lo
	v_cmp_eq_u32_e32 vcc_lo, 0x40f, v55
	v_lshl_or_b32 v0, v12, 16, v0
	v_and_or_b32 v13, 0x8000, v32, v14
	v_cndmask_b32_e32 v17, v54, v33, vcc_lo
	v_cmp_eq_u32_e32 vcc_lo, 0x40f, v57
	v_and_b32_e32 v13, 0xffff, v13
	v_and_or_b32 v14, 0x8000, v34, v17
	v_cndmask_b32_e32 v31, v56, v35, vcc_lo
	v_cmp_eq_u32_e32 vcc_lo, 0x40f, v59
	v_lshl_or_b32 v12, v14, 16, v13
	;; [unrolled: 8-line block ×3, first 2 shown]
	global_store_dword v[15:16], v0, off
	global_store_dword v[26:27], v12, off
	;; [unrolled: 1-line block ×3, first 2 shown]
	v_cndmask_b32_e32 v37, v62, v41, vcc_lo
	v_cmp_gt_i32_e32 vcc_lo, 31, v65
	v_lshrrev_b32_e32 v0, 2, v66
	v_mul_f64 v[12:13], v[51:52], s[26:27]
	v_lshrrev_b32_e32 v17, 8, v5
	v_bfe_u32 v26, v5, 20, 11
	v_cndmask_b32_e32 v14, 0x7c00, v64, vcc_lo
	v_cmp_eq_u32_e32 vcc_lo, 0x40f, v65
	v_lshrrev_b32_e32 v16, 16, v44
	v_and_or_b32 v32, 0x8000, v40, v35
	v_and_or_b32 v33, 0x8000, v42, v37
	v_lshrrev_b32_e32 v29, 16, v1
	v_cndmask_b32_e32 v14, v14, v43, vcc_lo
	s_or_b32 vcc_lo, s18, s17
	v_and_b32_e32 v32, 0xffff, v32
	v_add_co_ci_u32_e32 v0, vcc_lo, 0, v0, vcc_lo
	v_cmp_ne_u32_e32 vcc_lo, 0, v45
	v_and_or_b32 v27, 0x8000, v16, v14
	v_lshl_or_b32 v31, v33, 16, v32
	s_waitcnt vmcnt(3)
	v_mul_f16_sdwa v35, v29, v11 dst_sel:DWORD dst_unused:UNUSED_PAD src0_sel:DWORD src1_sel:WORD_1
	global_load_dword v24, v24, s[24:25] offset:320
	v_cndmask_b32_e64 v15, 0, 1, vcc_lo
	v_cmp_gt_i32_e32 vcc_lo, 31, v67
	v_and_b32_e32 v27, 0xffff, v27
	v_lshrrev_b32_e32 v33, 8, v13
	v_bfe_u32 v34, v13, 20, 11
	v_lshl_or_b32 v15, v15, 9, 0x7c00
	v_cndmask_b32_e32 v0, 0x7c00, v0, vcc_lo
	v_cmp_ne_u32_e32 vcc_lo, 0, v4
	v_fmac_f16_e32 v35, v1, v11
	v_cndmask_b32_e64 v4, 0, 1, vcc_lo
	v_cmp_eq_u32_e32 vcc_lo, 0x40f, v67
	v_cvt_f32_f16_e32 v35, v35
	v_and_or_b32 v4, 0xffe, v17, v4
	v_cndmask_b32_e32 v0, v0, v15, vcc_lo
	v_lshrrev_b32_e32 v15, 16, v46
	v_sub_nc_u32_e32 v17, 0x3f1, v26
	v_add_co_u32 v2, vcc_lo, v6, v2
	v_or_b32_e32 v16, 0x1000, v4
	v_and_or_b32 v28, 0x8000, v15, v0
	v_med3_i32 v17, v17, 0, 13
	v_and_or_b32 v0, 0x1ff, v13, v12
	v_add_co_ci_u32_e32 v3, vcc_lo, v7, v3, vcc_lo
	v_mad_u64_u32 v[14:15], null, s20, v25, 0
	v_lshrrev_b32_e32 v12, v17, v16
	v_cmp_ne_u32_e32 vcc_lo, 0, v0
	v_add_nc_u32_e32 v26, 0xfffffc10, v26
	v_lshl_or_b32 v27, v28, 16, v27
	global_store_dword v[2:3], v31, off
	v_lshlrev_b32_e32 v17, v17, v12
	v_cndmask_b32_e64 v32, 0, 1, vcc_lo
	v_mov_b32_e32 v0, v15
	v_sub_nc_u32_e32 v15, 0x3f1, v34
	v_add_nc_u32_e32 v31, 0xfffffc10, v34
	v_cmp_ne_u32_e32 vcc_lo, v17, v16
	v_and_or_b32 v32, 0xffe, v33, v32
	v_lshrrev_b32_e32 v13, 16, v13
	v_med3_i32 v36, v15, 0, 13
	v_mad_u64_u32 v[15:16], null, s21, v25, v[0:1]
	v_cndmask_b32_e64 v17, 0, 1, vcc_lo
	v_or_b32_e32 v33, 0x1000, v32
	v_cmp_gt_i32_e32 vcc_lo, 1, v26
	v_mul_f16_sdwa v1, v1, v11 dst_sel:DWORD dst_unused:UNUSED_PAD src0_sel:DWORD src1_sel:WORD_1
	v_cmp_gt_i32_e64 s1, 1, v31
	v_or_b32_e32 v0, v12, v17
	v_lshl_or_b32 v12, v26, 12, v4
	v_lshrrev_b32_e32 v25, v36, v33
	v_cvt_f64_f32_e32 v[16:17], v35
	v_fma_f16 v11, v11, v29, -v1
	v_lshlrev_b64 v[2:3], 2, v[14:15]
	v_cndmask_b32_e32 v0, v12, v0, vcc_lo
	v_lshlrev_b32_e32 v12, v36, v25
	v_lshl_or_b32 v14, v31, 12, v32
	v_cvt_f32_f16_e32 v11, v11
	v_and_b32_e32 v28, 7, v0
	v_cmp_ne_u32_e32 vcc_lo, v12, v33
	v_lshrrev_b32_e32 v15, 2, v0
	v_cmp_eq_u32_e64 s0, 3, v28
	v_cndmask_b32_e64 v12, 0, 1, vcc_lo
	v_cmp_lt_i32_e32 vcc_lo, 5, v28
	v_or_b32_e32 v12, v25, v12
	s_or_b32 vcc_lo, s0, vcc_lo
	v_add_co_ci_u32_e32 v15, vcc_lo, 0, v15, vcc_lo
	v_cndmask_b32_e64 v14, v14, v12, s1
	v_cvt_f64_f32_e32 v[11:12], v11
	v_cmp_ne_u32_e32 vcc_lo, 0, v4
	v_mul_f64 v[0:1], v[16:17], s[26:27]
	v_cmp_eq_u32_e64 s1, 0x40f, v26
	v_and_b32_e32 v16, 7, v14
	v_cndmask_b32_e64 v4, 0, 1, vcc_lo
	v_add_co_u32 v2, vcc_lo, v6, v2
	v_add_co_ci_u32_e32 v3, vcc_lo, v7, v3, vcc_lo
	v_cmp_gt_i32_e32 vcc_lo, 31, v26
	v_cmp_eq_u32_e64 s0, 3, v16
	v_lshl_or_b32 v4, v4, 9, 0x7c00
	global_store_dword v[2:3], v27, off
	v_lshrrev_b32_e32 v2, 2, v14
	v_cndmask_b32_e32 v15, 0x7c00, v15, vcc_lo
	v_cmp_lt_i32_e32 vcc_lo, 5, v16
	v_lshrrev_b32_e32 v27, 16, v5
	v_cndmask_b32_e64 v25, v15, v4, s1
	s_or_b32 vcc_lo, s0, vcc_lo
	v_mul_f64 v[11:12], v[11:12], s[26:27]
	v_add_co_ci_u32_e32 v4, vcc_lo, 0, v2, vcc_lo
	ds_read2_b32 v[2:3], v30 offset0:56 offset1:64
	v_and_or_b32 v0, 0x1ff, v1, v0
	v_cmp_ne_u32_e32 vcc_lo, 0, v32
	v_lshrrev_b32_e32 v15, 8, v1
	v_bfe_u32 v16, v1, 20, 11
	v_and_or_b32 v25, 0x8000, v27, v25
	v_cndmask_b32_e64 v14, 0, 1, vcc_lo
	v_cmp_ne_u32_e32 vcc_lo, 0, v0
	v_and_b32_e32 v25, 0xffff, v25
	v_lshl_or_b32 v17, v14, 9, 0x7c00
	v_cndmask_b32_e64 v0, 0, 1, vcc_lo
	v_cmp_gt_i32_e32 vcc_lo, 31, v31
	v_and_or_b32 v26, 0xffe, v15, v0
	v_sub_nc_u32_e32 v0, 0x3f1, v16
	v_mad_u64_u32 v[14:15], null, s20, v23, 0
	v_cndmask_b32_e32 v4, 0x7c00, v4, vcc_lo
	v_cmp_eq_u32_e32 vcc_lo, 0x40f, v31
	s_waitcnt lgkmcnt(0)
	v_lshrrev_b32_e32 v32, 16, v2
	v_or_b32_e32 v28, 0x1000, v26
	v_med3_i32 v29, v0, 0, 13
	v_and_or_b32 v11, 0x1ff, v12, v11
	v_cndmask_b32_e32 v31, v4, v17, vcc_lo
	s_waitcnt vmcnt(3)
	v_mul_f16_sdwa v17, v32, v8 dst_sel:DWORD dst_unused:UNUSED_PAD src0_sel:DWORD src1_sel:WORD_1
	v_mov_b32_e32 v0, v15
	v_lshrrev_b32_e32 v15, v29, v28
	v_cmp_ne_u32_e32 vcc_lo, 0, v11
	v_lshrrev_b32_e32 v11, 8, v12
	v_fmac_f16_e32 v17, v2, v8
	v_mad_u64_u32 v[4:5], null, s21, v23, v[0:1]
	v_lshlrev_b32_e32 v0, v29, v15
	v_cndmask_b32_e64 v5, 0, 1, vcc_lo
	v_bfe_u32 v23, v12, 20, 11
	v_cvt_f32_f16_e32 v17, v17
	v_mul_f16_sdwa v2, v2, v8 dst_sel:DWORD dst_unused:UNUSED_PAD src0_sel:DWORD src1_sel:WORD_1
	v_cmp_ne_u32_e32 vcc_lo, v0, v28
	v_and_or_b32 v11, 0xffe, v11, v5
	v_sub_nc_u32_e32 v5, 0x3f1, v23
	v_add_nc_u32_e32 v28, 0xfffffc10, v16
	v_cvt_f64_f32_e32 v[16:17], v17
	v_cndmask_b32_e64 v0, 0, 1, vcc_lo
	v_or_b32_e32 v29, 0x1000, v11
	v_med3_i32 v5, v5, 0, 13
	v_cmp_gt_i32_e32 vcc_lo, 1, v28
	v_and_or_b32 v13, 0x8000, v13, v31
	v_or_b32_e32 v0, v15, v0
	v_lshl_or_b32 v15, v28, 12, v26
	v_lshrrev_b32_e32 v27, v5, v29
	v_fma_f16 v2, v8, v32, -v2
	v_lshl_or_b32 v25, v13, 16, v25
	v_add_nc_u32_e32 v23, 0xfffffc10, v23
	v_cndmask_b32_e32 v0, v15, v0, vcc_lo
	v_lshlrev_b32_e32 v33, v5, v27
	v_mov_b32_e32 v15, v4
	v_cvt_f32_f16_e32 v2, v2
	v_lshrrev_b32_e32 v1, 16, v1
	v_and_b32_e32 v31, 7, v0
	v_cmp_ne_u32_e64 s0, v33, v29
	v_lshlrev_b64 v[4:5], 2, v[14:15]
	v_lshrrev_b32_e32 v0, 2, v0
	v_mul_f64 v[13:14], v[16:17], s[26:27]
	v_cmp_lt_i32_e32 vcc_lo, 5, v31
	v_cndmask_b32_e64 v8, 0, 1, s0
	v_cmp_eq_u32_e64 s0, 3, v31
	v_cvt_f64_f32_e32 v[15:16], v2
	v_lshl_or_b32 v2, v23, 12, v11
	v_or_b32_e32 v8, v27, v8
	s_or_b32 vcc_lo, s0, vcc_lo
	v_add_co_ci_u32_e32 v0, vcc_lo, 0, v0, vcc_lo
	v_cmp_ne_u32_e32 vcc_lo, 0, v26
	v_lshrrev_b32_e32 v26, 16, v12
	v_cndmask_b32_e64 v17, 0, 1, vcc_lo
	v_cmp_gt_i32_e32 vcc_lo, 1, v23
	v_and_or_b32 v13, 0x1ff, v14, v13
	v_cndmask_b32_e32 v2, v2, v8, vcc_lo
	v_add_co_u32 v4, vcc_lo, v6, v4
	v_add_co_ci_u32_e32 v5, vcc_lo, v7, v5, vcc_lo
	v_cmp_gt_i32_e32 vcc_lo, 31, v28
	v_lshl_or_b32 v8, v17, 9, 0x7c00
	v_and_b32_e32 v17, 7, v2
	v_cmp_ne_u32_e64 s0, 0, v13
	global_store_dword v[4:5], v25, off
	v_cndmask_b32_e32 v0, 0x7c00, v0, vcc_lo
	v_cmp_eq_u32_e32 vcc_lo, 0x40f, v28
	v_mul_f64 v[4:5], v[15:16], s[26:27]
	v_lshrrev_b32_e32 v2, 2, v2
	v_lshrrev_b32_e32 v13, 8, v14
	v_bfe_u32 v15, v14, 20, 11
	v_cndmask_b32_e32 v0, v0, v8, vcc_lo
	v_cmp_lt_i32_e32 vcc_lo, 5, v17
	v_cndmask_b32_e64 v8, 0, 1, s0
	v_cmp_eq_u32_e64 s0, 3, v17
	v_lshrrev_b32_e32 v25, 16, v3
	v_and_or_b32 v17, 0x8000, v1, v0
	v_lshrrev_b32_e32 v14, 16, v14
	v_and_or_b32 v8, 0xffe, v13, v8
	s_or_b32 vcc_lo, s0, vcc_lo
	v_sub_nc_u32_e32 v13, 0x3f1, v15
	v_add_co_ci_u32_e32 v2, vcc_lo, 0, v2, vcc_lo
	v_cmp_ne_u32_e32 vcc_lo, 0, v11
	v_or_b32_e32 v16, 0x1000, v8
	v_med3_i32 v13, v13, 0, 13
	s_waitcnt vmcnt(2)
	v_mul_f16_sdwa v12, v25, v10 dst_sel:DWORD dst_unused:UNUSED_PAD src0_sel:DWORD src1_sel:WORD_1
	v_add_nc_u32_e32 v15, 0xfffffc10, v15
	v_cndmask_b32_e64 v11, 0, 1, vcc_lo
	v_cmp_gt_i32_e32 vcc_lo, 31, v23
	v_and_or_b32 v4, 0x1ff, v5, v4
	v_bfe_u32 v27, v5, 20, 11
	v_fmac_f16_e32 v12, v3, v10
	v_lshl_or_b32 v1, v11, 9, 0x7c00
	v_cndmask_b32_e32 v0, 0x7c00, v2, vcc_lo
	v_cmp_eq_u32_e32 vcc_lo, 0x40f, v23
	v_lshrrev_b32_e32 v2, v13, v16
	v_cvt_f32_f16_e32 v12, v12
	v_mul_f16_sdwa v3, v3, v10 dst_sel:DWORD dst_unused:UNUSED_PAD src0_sel:DWORD src1_sel:WORD_1
	v_cndmask_b32_e32 v23, v0, v1, vcc_lo
	v_cmp_ne_u32_e32 vcc_lo, 0, v4
	v_lshlrev_b32_e32 v11, v13, v2
	v_lshrrev_b32_e32 v13, 8, v5
	v_mad_u64_u32 v[0:1], null, s20, v22, 0
	v_cndmask_b32_e64 v4, 0, 1, vcc_lo
	v_cmp_ne_u32_e32 vcc_lo, v11, v16
	v_cvt_f64_f32_e32 v[11:12], v12
	v_and_or_b32 v23, 0x8000, v26, v23
	v_fma_f16 v3, v10, v25, -v3
	v_and_or_b32 v4, 0xffe, v13, v4
	v_sub_nc_u32_e32 v13, 0x3f1, v27
	v_cndmask_b32_e64 v16, 0, 1, vcc_lo
	v_cmp_gt_i32_e32 vcc_lo, 1, v15
	v_lshrrev_b32_e32 v5, 16, v5
	v_or_b32_e32 v28, 0x1000, v4
	v_med3_i32 v13, v13, 0, 13
	v_or_b32_e32 v2, v2, v16
	v_lshl_or_b32 v16, v15, 12, v8
	v_lshrrev_b32_e32 v26, v13, v28
	v_cndmask_b32_e32 v16, v16, v2, vcc_lo
	v_mad_u64_u32 v[1:2], null, s21, v22, v[1:2]
	v_lshlrev_b32_e32 v13, v13, v26
	v_add_nc_u32_e32 v22, 0xfffffc10, v27
	v_and_b32_e32 v2, 7, v16
	v_cmp_ne_u32_e32 vcc_lo, v13, v28
	v_cvt_f32_f16_e32 v13, v3
	v_cmp_eq_u32_e64 s0, 3, v2
	v_cmp_gt_i32_e64 s1, 1, v22
	v_lshlrev_b64 v[0:1], 2, v[0:1]
	v_cndmask_b32_e64 v10, 0, 1, vcc_lo
	v_cmp_lt_i32_e32 vcc_lo, 5, v2
	v_mul_f64 v[2:3], v[11:12], s[26:27]
	v_lshrrev_b32_e32 v12, 2, v16
	v_and_b32_e32 v16, 0xffff, v17
	v_or_b32_e32 v25, v26, v10
	v_cvt_f64_f32_e32 v[10:11], v13
	s_or_b32 vcc_lo, s0, vcc_lo
	v_lshl_or_b32 v26, v22, 12, v4
	v_add_co_ci_u32_e32 v12, vcc_lo, 0, v12, vcc_lo
	v_cmp_ne_u32_e32 vcc_lo, 0, v8
	v_lshl_or_b32 v23, v23, 16, v16
	v_cndmask_b32_e64 v13, v26, v25, s1
	v_cmp_eq_u32_e64 s1, 0x40f, v15
	v_cndmask_b32_e64 v8, 0, 1, vcc_lo
	v_cmp_gt_i32_e32 vcc_lo, 31, v15
	v_and_b32_e32 v17, 7, v13
	v_lshl_or_b32 v8, v8, 9, 0x7c00
	v_cndmask_b32_e32 v12, 0x7c00, v12, vcc_lo
	v_cmp_lt_i32_e32 vcc_lo, 5, v17
	v_cmp_eq_u32_e64 s0, 3, v17
	v_and_or_b32 v2, 0x1ff, v3, v2
	v_lshrrev_b32_e32 v16, 8, v3
	v_cndmask_b32_e64 v8, v12, v8, s1
	v_mul_f64 v[10:11], v[10:11], s[26:27]
	v_lshrrev_b32_e32 v12, 2, v13
	s_or_b32 vcc_lo, s0, vcc_lo
	v_bfe_u32 v17, v3, 20, 11
	v_and_or_b32 v8, 0x8000, v14, v8
	v_add_co_ci_u32_e32 v15, vcc_lo, 0, v12, vcc_lo
	v_cmp_ne_u32_e32 vcc_lo, 0, v2
	ds_read2_b32 v[12:13], v30 offset0:72 offset1:80
	v_add_nc_u32_e32 v29, 0xfffffc10, v17
	v_cndmask_b32_e64 v2, 0, 1, vcc_lo
	v_cmp_ne_u32_e32 vcc_lo, 0, v4
	v_and_or_b32 v25, 0xffe, v16, v2
	v_cndmask_b32_e64 v4, 0, 1, vcc_lo
	v_sub_nc_u32_e32 v2, 0x3f1, v17
	v_cmp_gt_i32_e32 vcc_lo, 31, v22
	v_and_or_b32 v10, 0x1ff, v11, v10
	v_or_b32_e32 v16, 0x1000, v25
	v_lshl_or_b32 v4, v4, 9, 0x7c00
	v_med3_i32 v2, v2, 0, 13
	v_cndmask_b32_e32 v15, 0x7c00, v15, vcc_lo
	v_cmp_eq_u32_e32 vcc_lo, 0x40f, v22
	v_lshrrev_b32_e32 v14, 8, v11
	s_waitcnt lgkmcnt(0)
	v_lshrrev_b32_e32 v26, 16, v12
	v_bfe_u32 v27, v11, 20, 11
	v_lshrrev_b32_e32 v11, 16, v11
	v_cndmask_b32_e32 v4, v15, v4, vcc_lo
	v_lshrrev_b32_e32 v15, v2, v16
	v_cmp_ne_u32_e32 vcc_lo, 0, v10
	s_waitcnt vmcnt(1)
	v_mul_f16_sdwa v28, v26, v9 dst_sel:DWORD dst_unused:UNUSED_PAD src0_sel:DWORD src1_sel:WORD_1
	v_and_or_b32 v22, 0x8000, v5, v4
	v_lshlrev_b32_e32 v2, v2, v15
	v_cndmask_b32_e64 v10, 0, 1, vcc_lo
	v_fmac_f16_e32 v28, v12, v9
	v_mad_u64_u32 v[4:5], null, s20, v21, 0
	v_cmp_ne_u32_e32 vcc_lo, v2, v16
	v_and_or_b32 v10, 0xffe, v14, v10
	v_sub_nc_u32_e32 v14, 0x3f1, v27
	v_mul_f16_sdwa v12, v12, v9 dst_sel:DWORD dst_unused:UNUSED_PAD src0_sel:DWORD src1_sel:WORD_1
	v_cndmask_b32_e64 v16, 0, 1, vcc_lo
	v_or_b32_e32 v30, 0x1000, v10
	v_med3_i32 v31, v14, 0, 13
	v_cvt_f32_f16_e32 v14, v28
	v_mov_b32_e32 v2, v5
	v_or_b32_e32 v5, v15, v16
	v_lshl_or_b32 v28, v29, 12, v25
	v_lshrrev_b32_e32 v32, v31, v30
	v_cvt_f64_f32_e32 v[14:15], v14
	v_cmp_gt_i32_e32 vcc_lo, 1, v29
	v_mad_u64_u32 v[16:17], null, s21, v21, v[2:3]
	v_lshlrev_b32_e32 v17, v31, v32
	v_and_b32_e32 v2, 0xffff, v8
	v_cndmask_b32_e32 v8, v28, v5, vcc_lo
	v_add_co_u32 v0, vcc_lo, v6, v0
	v_add_co_ci_u32_e32 v1, vcc_lo, v7, v1, vcc_lo
	v_cmp_ne_u32_e32 vcc_lo, v17, v30
	v_lshl_or_b32 v21, v22, 16, v2
	v_and_b32_e32 v2, 7, v8
	v_mov_b32_e32 v5, v16
	v_add_nc_u32_e32 v17, 0xfffffc10, v27
	v_cndmask_b32_e64 v16, 0, 1, vcc_lo
	v_lshrrev_b32_e32 v8, 2, v8
	v_cmp_lt_i32_e32 vcc_lo, 5, v2
	v_cmp_eq_u32_e64 s0, 3, v2
	v_cmp_gt_i32_e64 s1, 1, v17
	v_or_b32_e32 v2, v32, v16
	v_lshl_or_b32 v16, v17, 12, v10
	v_mul_f64 v[14:15], v[14:15], s[26:27]
	s_or_b32 vcc_lo, s0, vcc_lo
	v_fma_f16 v9, v9, v26, -v12
	v_add_co_ci_u32_e32 v8, vcc_lo, 0, v8, vcc_lo
	v_cndmask_b32_e64 v2, v16, v2, s1
	v_cmp_ne_u32_e32 vcc_lo, 0, v25
	v_cmp_eq_u32_e64 s1, 0x40f, v29
	v_lshrrev_b32_e32 v25, 16, v3
	v_lshlrev_b64 v[4:5], 2, v[4:5]
	v_and_b32_e32 v16, 7, v2
	v_cndmask_b32_e64 v12, 0, 1, vcc_lo
	v_cmp_gt_i32_e32 vcc_lo, 31, v29
	v_lshrrev_b32_e32 v2, 2, v2
	v_lshrrev_b32_e32 v26, 16, v13
	v_cmp_eq_u32_e64 s0, 3, v16
	v_lshl_or_b32 v12, v12, 9, 0x7c00
	v_cndmask_b32_e32 v22, 0x7c00, v8, vcc_lo
	v_cmp_lt_i32_e32 vcc_lo, 5, v16
	v_cvt_f32_f16_e32 v8, v9
	s_waitcnt vmcnt(0)
	v_mul_f16_sdwa v28, v26, v24 dst_sel:DWORD dst_unused:UNUSED_PAD src0_sel:DWORD src1_sel:WORD_1
	v_and_or_b32 v14, 0x1ff, v15, v14
	s_or_b32 vcc_lo, s0, vcc_lo
	v_cvt_f64_f32_e32 v[8:9], v8
	v_add_co_ci_u32_e32 v2, vcc_lo, 0, v2, vcc_lo
	v_cmp_ne_u32_e32 vcc_lo, 0, v10
	v_cndmask_b32_e64 v12, v22, v12, s1
	v_lshrrev_b32_e32 v16, 8, v15
	v_bfe_u32 v22, v15, 20, 11
	v_fmac_f16_e32 v28, v13, v24
	v_cndmask_b32_e64 v10, 0, 1, vcc_lo
	v_cmp_ne_u32_e32 vcc_lo, 0, v14
	v_and_or_b32 v12, 0x8000, v25, v12
	v_mul_f16_sdwa v13, v13, v24 dst_sel:DWORD dst_unused:UNUSED_PAD src0_sel:DWORD src1_sel:WORD_1
	v_lshrrev_b32_e32 v15, 16, v15
	v_lshl_or_b32 v10, v10, 9, 0x7c00
	v_cndmask_b32_e64 v14, 0, 1, vcc_lo
	v_cmp_gt_i32_e32 vcc_lo, 31, v17
	v_fma_f16 v13, v24, v26, -v13
	v_and_or_b32 v14, 0xffe, v16, v14
	v_cndmask_b32_e32 v2, 0x7c00, v2, vcc_lo
	v_cmp_eq_u32_e32 vcc_lo, 0x40f, v17
	v_sub_nc_u32_e32 v16, 0x3f1, v22
	v_or_b32_e32 v17, 0x1000, v14
	v_cndmask_b32_e32 v10, v2, v10, vcc_lo
	v_mul_f64 v[2:3], v[8:9], s[26:27]
	v_med3_i32 v16, v16, 0, 13
	v_add_co_u32 v4, vcc_lo, v6, v4
	v_add_co_ci_u32_e32 v5, vcc_lo, v7, v5, vcc_lo
	v_lshrrev_b32_e32 v27, v16, v17
	v_mad_u64_u32 v[8:9], null, s20, v20, 0
	v_and_or_b32 v25, 0x8000, v11, v10
	v_lshlrev_b32_e32 v16, v16, v27
	v_mad_u64_u32 v[9:10], null, s21, v20, v[9:10]
	v_cmp_ne_u32_e32 vcc_lo, v16, v17
	v_add_nc_u32_e32 v16, 0xfffffc10, v22
	v_cvt_f32_f16_e32 v17, v28
	v_and_or_b32 v2, 0x1ff, v3, v2
	v_cndmask_b32_e64 v11, 0, 1, vcc_lo
	v_lshl_or_b32 v22, v16, 12, v14
	v_lshlrev_b64 v[8:9], 2, v[8:9]
	v_cmp_ne_u32_e32 vcc_lo, 0, v2
	v_or_b32_e32 v20, v27, v11
	v_cvt_f64_f32_e32 v[10:11], v17
	v_lshrrev_b32_e32 v17, 8, v3
	v_bfe_u32 v27, v3, 20, 11
	v_cndmask_b32_e64 v2, 0, 1, vcc_lo
	v_cmp_gt_i32_e32 vcc_lo, 1, v16
	v_and_or_b32 v2, 0xffe, v17, v2
	v_cndmask_b32_e32 v20, v22, v20, vcc_lo
	v_sub_nc_u32_e32 v17, 0x3f1, v27
	v_and_b32_e32 v22, 0xffff, v12
	v_cvt_f32_f16_e32 v12, v13
	v_or_b32_e32 v26, 0x1000, v2
	v_and_b32_e32 v24, 7, v20
	v_med3_i32 v17, v17, 0, 13
	v_lshrrev_b32_e32 v20, 2, v20
	v_cvt_f64_f32_e32 v[12:13], v12
	v_lshl_or_b32 v22, v25, 16, v22
	v_cmp_lt_i32_e32 vcc_lo, 5, v24
	v_cmp_eq_u32_e64 s0, 3, v24
	v_lshrrev_b32_e32 v25, v17, v26
	v_mul_f64 v[10:11], v[10:11], s[26:27]
	v_add_nc_u32_e32 v24, 0xfffffc10, v27
	s_or_b32 vcc_lo, s0, vcc_lo
	v_lshlrev_b32_e32 v17, v17, v25
	v_add_co_ci_u32_e32 v20, vcc_lo, 0, v20, vcc_lo
	v_cmp_ne_u32_e32 vcc_lo, 0, v14
	v_cndmask_b32_e64 v14, 0, 1, vcc_lo
	v_cmp_ne_u32_e32 vcc_lo, v17, v26
	v_lshl_or_b32 v14, v14, 9, 0x7c00
	v_cndmask_b32_e64 v17, 0, 1, vcc_lo
	v_cmp_gt_i32_e32 vcc_lo, 31, v16
	v_mul_f64 v[12:13], v[12:13], s[26:27]
	v_and_or_b32 v10, 0x1ff, v11, v10
	v_or_b32_e32 v17, v25, v17
	v_cndmask_b32_e32 v20, 0x7c00, v20, vcc_lo
	v_cmp_eq_u32_e32 vcc_lo, 0x40f, v16
	v_lshl_or_b32 v25, v24, 12, v2
	v_cndmask_b32_e32 v14, v20, v14, vcc_lo
	v_cmp_gt_i32_e32 vcc_lo, 1, v24
	v_and_or_b32 v20, 0x8000, v15, v14
	v_cndmask_b32_e32 v16, v25, v17, vcc_lo
	v_add_co_u32 v8, vcc_lo, v6, v8
	v_add_co_ci_u32_e32 v9, vcc_lo, v7, v9, vcc_lo
	v_cmp_ne_u32_e32 vcc_lo, 0, v10
	v_and_b32_e32 v14, 7, v16
	v_lshrrev_b32_e32 v15, 8, v11
	v_bfe_u32 v17, v11, 20, 11
	v_and_or_b32 v12, 0x1ff, v13, v12
	v_cndmask_b32_e64 v10, 0, 1, vcc_lo
	v_cmp_lt_i32_e32 vcc_lo, 5, v14
	v_cmp_eq_u32_e64 s0, 3, v14
	v_lshrrev_b32_e32 v14, 2, v16
	v_lshrrev_b32_e32 v25, 8, v13
	v_and_or_b32 v10, 0xffe, v15, v10
	v_sub_nc_u32_e32 v15, 0x3f1, v17
	s_or_b32 vcc_lo, s0, vcc_lo
	v_bfe_u32 v26, v13, 20, 11
	v_add_co_ci_u32_e32 v14, vcc_lo, 0, v14, vcc_lo
	v_or_b32_e32 v16, 0x1000, v10
	v_med3_i32 v15, v15, 0, 13
	v_cmp_ne_u32_e32 vcc_lo, 0, v12
	v_add_nc_u32_e32 v30, 0xfffffc10, v17
	v_lshrrev_b32_e32 v13, 16, v13
	v_lshrrev_b32_e32 v27, v15, v16
	v_cndmask_b32_e64 v12, 0, 1, vcc_lo
	v_cmp_ne_u32_e32 vcc_lo, 0, v2
	v_lshlrev_b32_e32 v15, v15, v27
	v_and_or_b32 v12, 0xffe, v25, v12
	v_cndmask_b32_e64 v2, 0, 1, vcc_lo
	v_sub_nc_u32_e32 v25, 0x3f1, v26
	v_cmp_gt_i32_e32 vcc_lo, 31, v24
	v_add_nc_u32_e32 v26, 0xfffffc10, v26
	v_or_b32_e32 v29, 0x1000, v12
	v_lshl_or_b32 v2, v2, 9, 0x7c00
	v_med3_i32 v25, v25, 0, 13
	v_cndmask_b32_e32 v28, 0x7c00, v14, vcc_lo
	v_cmp_ne_u32_e32 vcc_lo, v15, v16
	v_mad_u64_u32 v[14:15], null, s20, v19, 0
	v_lshrrev_b32_e32 v17, v25, v29
	v_cmp_gt_i32_e64 s1, 1, v26
	v_cndmask_b32_e64 v16, 0, 1, vcc_lo
	v_cmp_eq_u32_e32 vcc_lo, 0x40f, v24
	v_lshlrev_b32_e32 v25, v25, v17
	v_or_b32_e32 v16, v27, v16
	v_lshl_or_b32 v27, v30, 12, v10
	v_cndmask_b32_e32 v24, v28, v2, vcc_lo
	v_cmp_gt_i32_e32 vcc_lo, 1, v30
	v_mov_b32_e32 v2, v15
	v_cndmask_b32_e32 v27, v27, v16, vcc_lo
	v_cmp_ne_u32_e32 vcc_lo, v25, v29
	v_mad_u64_u32 v[15:16], null, s21, v19, v[2:3]
	v_lshl_or_b32 v16, v26, 12, v12
	v_and_b32_e32 v28, 7, v27
	v_cndmask_b32_e64 v25, 0, 1, vcc_lo
	v_lshrrev_b32_e32 v3, 16, v3
	v_cmp_lt_i32_e32 vcc_lo, 5, v28
	v_or_b32_e32 v2, v17, v25
	v_cmp_eq_u32_e64 s0, 3, v28
	v_lshrrev_b32_e32 v17, 2, v27
	v_and_or_b32 v19, 0x8000, v3, v24
	v_cndmask_b32_e64 v2, v16, v2, s1
	s_or_b32 vcc_lo, s0, vcc_lo
	v_cmp_ne_u32_e64 s1, 0, v10
	v_add_co_ci_u32_e32 v16, vcc_lo, 0, v17, vcc_lo
	v_and_b32_e32 v17, 7, v2
	v_cmp_gt_i32_e32 vcc_lo, 31, v30
	v_cndmask_b32_e64 v10, 0, 1, s1
	v_cmp_eq_u32_e64 s0, 3, v17
	v_cndmask_b32_e32 v24, 0x7c00, v16, vcc_lo
	v_cmp_lt_i32_e32 vcc_lo, 5, v17
	v_lshrrev_b32_e32 v16, 2, v2
	v_mad_u64_u32 v[2:3], null, s20, v18, 0
	v_lshl_or_b32 v10, v10, 9, 0x7c00
	s_or_b32 vcc_lo, s0, vcc_lo
	v_add_co_ci_u32_e32 v16, vcc_lo, 0, v16, vcc_lo
	v_cmp_ne_u32_e32 vcc_lo, 0, v12
	v_cndmask_b32_e64 v12, 0, 1, vcc_lo
	v_cmp_gt_i32_e32 vcc_lo, 31, v26
	v_lshl_or_b32 v12, v12, 9, 0x7c00
	v_cndmask_b32_e32 v25, 0x7c00, v16, vcc_lo
	v_cmp_eq_u32_e32 vcc_lo, 0x40f, v30
	v_mad_u64_u32 v[16:17], null, s21, v18, v[3:4]
	v_and_b32_e32 v17, 0xffff, v20
	v_cndmask_b32_e32 v3, v24, v10, vcc_lo
	v_lshrrev_b32_e32 v10, 16, v11
	v_cmp_eq_u32_e32 vcc_lo, 0x40f, v26
	v_and_or_b32 v18, 0x8000, v10, v3
	v_mov_b32_e32 v3, v16
	v_lshlrev_b64 v[10:11], 2, v[14:15]
	v_cndmask_b32_e32 v12, v25, v12, vcc_lo
	v_lshl_or_b32 v14, v19, 16, v17
	v_lshlrev_b64 v[2:3], 2, v[2:3]
	v_and_or_b32 v12, 0x8000, v13, v12
	v_and_b32_e32 v13, 0xffff, v18
	v_add_co_u32 v10, vcc_lo, v6, v10
	v_add_co_ci_u32_e32 v11, vcc_lo, v7, v11, vcc_lo
	v_add_co_u32 v2, vcc_lo, v6, v2
	v_lshl_or_b32 v12, v12, 16, v13
	v_add_co_ci_u32_e32 v3, vcc_lo, v7, v3, vcc_lo
	global_store_dword v[0:1], v23, off
	global_store_dword v[4:5], v21, off
	;; [unrolled: 1-line block ×5, first 2 shown]
.LBB0_15:
	s_endpgm
	.section	.rodata,"a",@progbits
	.p2align	6, 0x0
	.amdhsa_kernel bluestein_single_fwd_len88_dim1_half_op_CI_CI
		.amdhsa_group_segment_fixed_size 3872
		.amdhsa_private_segment_fixed_size 0
		.amdhsa_kernarg_size 104
		.amdhsa_user_sgpr_count 6
		.amdhsa_user_sgpr_private_segment_buffer 1
		.amdhsa_user_sgpr_dispatch_ptr 0
		.amdhsa_user_sgpr_queue_ptr 0
		.amdhsa_user_sgpr_kernarg_segment_ptr 1
		.amdhsa_user_sgpr_dispatch_id 0
		.amdhsa_user_sgpr_flat_scratch_init 0
		.amdhsa_user_sgpr_private_segment_size 0
		.amdhsa_wavefront_size32 1
		.amdhsa_uses_dynamic_stack 0
		.amdhsa_system_sgpr_private_segment_wavefront_offset 0
		.amdhsa_system_sgpr_workgroup_id_x 1
		.amdhsa_system_sgpr_workgroup_id_y 0
		.amdhsa_system_sgpr_workgroup_id_z 0
		.amdhsa_system_sgpr_workgroup_info 0
		.amdhsa_system_vgpr_workitem_id 0
		.amdhsa_next_free_vgpr 102
		.amdhsa_next_free_sgpr 28
		.amdhsa_reserve_vcc 1
		.amdhsa_reserve_flat_scratch 0
		.amdhsa_float_round_mode_32 0
		.amdhsa_float_round_mode_16_64 0
		.amdhsa_float_denorm_mode_32 3
		.amdhsa_float_denorm_mode_16_64 3
		.amdhsa_dx10_clamp 1
		.amdhsa_ieee_mode 1
		.amdhsa_fp16_overflow 0
		.amdhsa_workgroup_processor_mode 1
		.amdhsa_memory_ordered 1
		.amdhsa_forward_progress 0
		.amdhsa_shared_vgpr_count 0
		.amdhsa_exception_fp_ieee_invalid_op 0
		.amdhsa_exception_fp_denorm_src 0
		.amdhsa_exception_fp_ieee_div_zero 0
		.amdhsa_exception_fp_ieee_overflow 0
		.amdhsa_exception_fp_ieee_underflow 0
		.amdhsa_exception_fp_ieee_inexact 0
		.amdhsa_exception_int_div_zero 0
	.end_amdhsa_kernel
	.text
.Lfunc_end0:
	.size	bluestein_single_fwd_len88_dim1_half_op_CI_CI, .Lfunc_end0-bluestein_single_fwd_len88_dim1_half_op_CI_CI
                                        ; -- End function
	.section	.AMDGPU.csdata,"",@progbits
; Kernel info:
; codeLenInByte = 14844
; NumSgprs: 30
; NumVgprs: 102
; ScratchSize: 0
; MemoryBound: 0
; FloatMode: 240
; IeeeMode: 1
; LDSByteSize: 3872 bytes/workgroup (compile time only)
; SGPRBlocks: 3
; VGPRBlocks: 12
; NumSGPRsForWavesPerEU: 30
; NumVGPRsForWavesPerEU: 102
; Occupancy: 9
; WaveLimiterHint : 1
; COMPUTE_PGM_RSRC2:SCRATCH_EN: 0
; COMPUTE_PGM_RSRC2:USER_SGPR: 6
; COMPUTE_PGM_RSRC2:TRAP_HANDLER: 0
; COMPUTE_PGM_RSRC2:TGID_X_EN: 1
; COMPUTE_PGM_RSRC2:TGID_Y_EN: 0
; COMPUTE_PGM_RSRC2:TGID_Z_EN: 0
; COMPUTE_PGM_RSRC2:TIDIG_COMP_CNT: 0
	.text
	.p2alignl 6, 3214868480
	.fill 48, 4, 3214868480
	.type	__hip_cuid_a55b539599d79d46,@object ; @__hip_cuid_a55b539599d79d46
	.section	.bss,"aw",@nobits
	.globl	__hip_cuid_a55b539599d79d46
__hip_cuid_a55b539599d79d46:
	.byte	0                               ; 0x0
	.size	__hip_cuid_a55b539599d79d46, 1

	.ident	"AMD clang version 19.0.0git (https://github.com/RadeonOpenCompute/llvm-project roc-6.4.0 25133 c7fe45cf4b819c5991fe208aaa96edf142730f1d)"
	.section	".note.GNU-stack","",@progbits
	.addrsig
	.addrsig_sym __hip_cuid_a55b539599d79d46
	.amdgpu_metadata
---
amdhsa.kernels:
  - .args:
      - .actual_access:  read_only
        .address_space:  global
        .offset:         0
        .size:           8
        .value_kind:     global_buffer
      - .actual_access:  read_only
        .address_space:  global
        .offset:         8
        .size:           8
        .value_kind:     global_buffer
      - .actual_access:  read_only
        .address_space:  global
        .offset:         16
        .size:           8
        .value_kind:     global_buffer
      - .actual_access:  read_only
        .address_space:  global
        .offset:         24
        .size:           8
        .value_kind:     global_buffer
      - .actual_access:  read_only
        .address_space:  global
        .offset:         32
        .size:           8
        .value_kind:     global_buffer
      - .offset:         40
        .size:           8
        .value_kind:     by_value
      - .address_space:  global
        .offset:         48
        .size:           8
        .value_kind:     global_buffer
      - .address_space:  global
        .offset:         56
        .size:           8
        .value_kind:     global_buffer
      - .address_space:  global
        .offset:         64
        .size:           8
        .value_kind:     global_buffer
      - .address_space:  global
        .offset:         72
        .size:           8
        .value_kind:     global_buffer
      - .offset:         80
        .size:           4
        .value_kind:     by_value
      - .address_space:  global
        .offset:         88
        .size:           8
        .value_kind:     global_buffer
      - .address_space:  global
        .offset:         96
        .size:           8
        .value_kind:     global_buffer
    .group_segment_fixed_size: 3872
    .kernarg_segment_align: 8
    .kernarg_segment_size: 104
    .language:       OpenCL C
    .language_version:
      - 2
      - 0
    .max_flat_workgroup_size: 121
    .name:           bluestein_single_fwd_len88_dim1_half_op_CI_CI
    .private_segment_fixed_size: 0
    .sgpr_count:     30
    .sgpr_spill_count: 0
    .symbol:         bluestein_single_fwd_len88_dim1_half_op_CI_CI.kd
    .uniform_work_group_size: 1
    .uses_dynamic_stack: false
    .vgpr_count:     102
    .vgpr_spill_count: 0
    .wavefront_size: 32
    .workgroup_processor_mode: 1
amdhsa.target:   amdgcn-amd-amdhsa--gfx1030
amdhsa.version:
  - 1
  - 2
...

	.end_amdgpu_metadata
